;; amdgpu-corpus repo=ROCm/rocFFT kind=compiled arch=gfx906 opt=O3
	.text
	.amdgcn_target "amdgcn-amd-amdhsa--gfx906"
	.amdhsa_code_object_version 6
	.protected	bluestein_single_fwd_len585_dim1_sp_op_CI_CI ; -- Begin function bluestein_single_fwd_len585_dim1_sp_op_CI_CI
	.globl	bluestein_single_fwd_len585_dim1_sp_op_CI_CI
	.p2align	8
	.type	bluestein_single_fwd_len585_dim1_sp_op_CI_CI,@function
bluestein_single_fwd_len585_dim1_sp_op_CI_CI: ; @bluestein_single_fwd_len585_dim1_sp_op_CI_CI
; %bb.0:
	v_mul_u32_u24_e32 v1, 0x3f1, v0
	s_load_dwordx4 s[0:3], s[4:5], 0x28
	v_lshrrev_b32_e32 v1, 16, v1
	v_mad_u64_u32 v[64:65], s[6:7], s6, 3, v[1:2]
	v_mov_b32_e32 v65, 0
	s_waitcnt lgkmcnt(0)
	v_cmp_gt_u64_e32 vcc, s[0:1], v[64:65]
	s_and_saveexec_b64 s[0:1], vcc
	s_cbranch_execz .LBB0_23
; %bb.1:
	s_mov_b32 s0, 0xaaaaaaab
	v_mul_hi_u32 v2, v64, s0
	v_mul_lo_u16_e32 v1, 0x41, v1
	s_load_dwordx2 s[8:9], s[4:5], 0x0
	s_load_dwordx2 s[10:11], s[4:5], 0x38
	v_sub_u16_e32 v70, v0, v1
	v_lshrrev_b32_e32 v0, 1, v2
	v_lshl_add_u32 v0, v0, 1, v0
	v_sub_u32_e32 v0, v64, v0
	v_mul_u32_u24_e32 v42, 0x249, v0
	v_cmp_gt_u16_e64 s[0:1], 45, v70
	v_lshlrev_b32_e32 v69, 3, v70
	v_lshlrev_b32_e32 v71, 3, v42
	s_and_saveexec_b64 s[6:7], s[0:1]
	s_cbranch_execz .LBB0_3
; %bb.2:
	s_load_dwordx2 s[12:13], s[4:5], 0x18
	s_waitcnt lgkmcnt(0)
	s_load_dwordx4 s[12:15], s[12:13], 0x0
	s_waitcnt lgkmcnt(0)
	v_mad_u64_u32 v[0:1], s[16:17], s14, v64, 0
	v_mad_u64_u32 v[2:3], s[16:17], s12, v70, 0
	;; [unrolled: 1-line block ×4, first 2 shown]
	v_mov_b32_e32 v1, v4
	v_lshlrev_b64 v[0:1], 3, v[0:1]
	v_mov_b32_e32 v3, v5
	v_mov_b32_e32 v6, s3
	v_lshlrev_b64 v[2:3], 3, v[2:3]
	v_add_co_u32_e32 v0, vcc, s2, v0
	v_addc_co_u32_e32 v1, vcc, v6, v1, vcc
	v_add_co_u32_e32 v0, vcc, v0, v2
	v_addc_co_u32_e32 v1, vcc, v1, v3, vcc
	v_mov_b32_e32 v2, s9
	v_add_co_u32_e32 v51, vcc, s8, v69
	s_mul_i32 s2, s13, 0x168
	s_mul_hi_u32 s3, s12, 0x168
	v_addc_co_u32_e32 v52, vcc, 0, v2, vcc
	s_add_i32 s2, s3, s2
	s_mul_i32 s3, s12, 0x168
	v_mov_b32_e32 v3, s2
	v_add_co_u32_e32 v2, vcc, s3, v0
	v_addc_co_u32_e32 v3, vcc, v1, v3, vcc
	v_mov_b32_e32 v5, s2
	v_add_co_u32_e32 v4, vcc, s3, v2
	v_addc_co_u32_e32 v5, vcc, v3, v5, vcc
	;; [unrolled: 3-line block ×3, first 2 shown]
	global_load_dwordx2 v[6:7], v69, s[8:9]
	global_load_dwordx2 v[8:9], v69, s[8:9] offset:360
	global_load_dwordx2 v[10:11], v69, s[8:9] offset:720
	global_load_dwordx2 v[14:15], v[0:1], off
	global_load_dwordx2 v[16:17], v[2:3], off
	global_load_dwordx2 v[18:19], v[4:5], off
	global_load_dwordx2 v[20:21], v[12:13], off
	v_mov_b32_e32 v1, s2
	v_add_co_u32_e32 v0, vcc, s3, v12
	v_addc_co_u32_e32 v1, vcc, v13, v1, vcc
	global_load_dwordx2 v[2:3], v[0:1], off
	v_mov_b32_e32 v4, s2
	v_add_co_u32_e32 v0, vcc, s3, v0
	v_addc_co_u32_e32 v1, vcc, v1, v4, vcc
	global_load_dwordx2 v[4:5], v[0:1], off
	;; [unrolled: 4-line block ×3, first 2 shown]
	global_load_dwordx2 v[22:23], v69, s[8:9] offset:1080
	global_load_dwordx2 v[24:25], v69, s[8:9] offset:1440
	global_load_dwordx2 v[26:27], v69, s[8:9] offset:1800
	global_load_dwordx2 v[28:29], v69, s[8:9] offset:2160
	v_mov_b32_e32 v30, s2
	v_add_co_u32_e32 v0, vcc, s3, v0
	v_addc_co_u32_e32 v1, vcc, v1, v30, vcc
	global_load_dwordx2 v[30:31], v[0:1], off
	v_mov_b32_e32 v32, s2
	v_add_co_u32_e32 v0, vcc, s3, v0
	v_addc_co_u32_e32 v1, vcc, v1, v32, vcc
	global_load_dwordx2 v[32:33], v[0:1], off
	;; [unrolled: 4-line block ×3, first 2 shown]
	v_mov_b32_e32 v36, s2
	v_add_co_u32_e32 v0, vcc, s3, v0
	v_addc_co_u32_e32 v1, vcc, v1, v36, vcc
	global_load_dwordx2 v[36:37], v69, s[8:9] offset:2520
	global_load_dwordx2 v[38:39], v[0:1], off
	global_load_dwordx2 v[40:41], v69, s[8:9] offset:2880
	global_load_dwordx2 v[43:44], v69, s[8:9] offset:3240
	;; [unrolled: 1-line block ×3, first 2 shown]
	v_mov_b32_e32 v47, s2
	v_add_co_u32_e32 v0, vcc, s3, v0
	v_addc_co_u32_e32 v1, vcc, v1, v47, vcc
	global_load_dwordx2 v[47:48], v[0:1], off
	global_load_dwordx2 v[49:50], v69, s[8:9] offset:3960
	v_mov_b32_e32 v53, s2
	v_add_co_u32_e32 v0, vcc, s3, v0
	v_addc_co_u32_e32 v1, vcc, v1, v53, vcc
	v_add_co_u32_e32 v51, vcc, 0x1000, v51
	v_addc_co_u32_e32 v52, vcc, 0, v52, vcc
	global_load_dwordx2 v[0:1], v[0:1], off
	s_waitcnt vmcnt(21)
	v_mul_f32_e32 v53, v15, v7
	global_load_dwordx2 v[51:52], v[51:52], off offset:224
	v_mul_f32_e32 v7, v14, v7
	v_fmac_f32_e32 v53, v14, v6
	v_fma_f32 v54, v15, v6, -v7
	v_lshl_add_u32 v6, v70, 3, v71
	ds_write_b64 v6, v[53:54]
	s_waitcnt vmcnt(21)
	v_mul_f32_e32 v6, v17, v9
	v_mul_f32_e32 v7, v16, v9
	v_fmac_f32_e32 v6, v16, v8
	v_fma_f32 v7, v17, v8, -v7
	s_waitcnt vmcnt(20)
	v_mul_f32_e32 v8, v19, v11
	v_mul_f32_e32 v9, v18, v11
	v_add_u32_e32 v14, v71, v69
	v_fmac_f32_e32 v8, v18, v10
	v_fma_f32 v9, v19, v10, -v9
	ds_write2_b64 v14, v[6:7], v[8:9] offset0:45 offset1:90
	s_waitcnt vmcnt(15)
	v_mul_f32_e32 v6, v21, v23
	s_waitcnt vmcnt(14)
	v_mul_f32_e32 v8, v3, v25
	v_fmac_f32_e32 v8, v2, v24
	v_mul_f32_e32 v2, v2, v25
	v_mul_f32_e32 v7, v20, v23
	v_fma_f32 v9, v3, v24, -v2
	s_waitcnt vmcnt(13)
	v_mul_f32_e32 v2, v5, v27
	v_mul_f32_e32 v3, v4, v27
	v_fmac_f32_e32 v6, v20, v22
	v_fma_f32 v7, v21, v22, -v7
	v_fmac_f32_e32 v2, v4, v26
	v_fma_f32 v3, v5, v26, -v3
	s_waitcnt vmcnt(12)
	v_mul_f32_e32 v4, v13, v29
	v_mul_f32_e32 v5, v12, v29
	ds_write2_b64 v14, v[6:7], v[8:9] offset0:135 offset1:180
	v_fmac_f32_e32 v4, v12, v28
	v_fma_f32 v5, v13, v28, -v5
	v_add_u32_e32 v6, 0x400, v14
	ds_write2_b64 v6, v[2:3], v[4:5] offset0:97 offset1:142
	v_add_u32_e32 v6, 0x800, v14
	s_waitcnt vmcnt(8)
	v_mul_f32_e32 v2, v31, v37
	v_mul_f32_e32 v3, v30, v37
	s_waitcnt vmcnt(6)
	v_mul_f32_e32 v4, v33, v41
	v_mul_f32_e32 v5, v32, v41
	v_fmac_f32_e32 v2, v30, v36
	v_fma_f32 v3, v31, v36, -v3
	v_fmac_f32_e32 v4, v32, v40
	v_fma_f32 v5, v33, v40, -v5
	ds_write2_b64 v6, v[2:3], v[4:5] offset0:59 offset1:104
	s_waitcnt vmcnt(5)
	v_mul_f32_e32 v2, v35, v44
	v_mul_f32_e32 v3, v34, v44
	s_waitcnt vmcnt(4)
	v_mul_f32_e32 v4, v39, v46
	v_mul_f32_e32 v5, v38, v46
	v_fmac_f32_e32 v2, v34, v43
	v_fma_f32 v3, v35, v43, -v3
	v_fmac_f32_e32 v4, v38, v45
	v_fma_f32 v5, v39, v45, -v5
	ds_write2_b64 v6, v[2:3], v[4:5] offset0:149 offset1:194
	s_waitcnt vmcnt(2)
	v_mul_f32_e32 v2, v48, v50
	v_mul_f32_e32 v3, v47, v50
	v_fmac_f32_e32 v2, v47, v49
	v_fma_f32 v3, v48, v49, -v3
	s_waitcnt vmcnt(0)
	v_mul_f32_e32 v4, v1, v52
	v_fmac_f32_e32 v4, v0, v51
	v_mul_f32_e32 v0, v0, v52
	v_fma_f32 v5, v1, v51, -v0
	v_add_u32_e32 v0, 0xc00, v14
	ds_write2_b64 v0, v[2:3], v[4:5] offset0:111 offset1:156
.LBB0_3:
	s_or_b64 exec, exec, s[6:7]
	v_mov_b32_e32 v4, 0
	v_mov_b32_e32 v5, 0
	s_waitcnt lgkmcnt(0)
	s_barrier
	s_waitcnt lgkmcnt(0)
                                        ; implicit-def: $vgpr10
                                        ; implicit-def: $vgpr16
                                        ; implicit-def: $vgpr24
                                        ; implicit-def: $vgpr28
                                        ; implicit-def: $vgpr22
                                        ; implicit-def: $vgpr14
	s_and_saveexec_b64 s[2:3], s[0:1]
	s_cbranch_execz .LBB0_5
; %bb.4:
	v_lshl_add_u32 v0, v42, 3, v69
	v_add_u32_e32 v1, 0x800, v0
	ds_read2_b64 v[4:7], v0 offset1:45
	ds_read2_b64 v[12:15], v0 offset0:90 offset1:135
	ds_read2_b64 v[20:23], v0 offset0:180 offset1:225
	;; [unrolled: 1-line block ×5, first 2 shown]
	ds_read_b64 v[28:29], v0 offset:4320
.LBB0_5:
	s_or_b64 exec, exec, s[2:3]
	s_waitcnt lgkmcnt(0)
	v_sub_f32_e32 v37, v7, v29
	v_mul_f32_e32 v43, 0xbeedf032, v37
	v_sub_f32_e32 v41, v13, v27
	v_add_f32_e32 v49, v28, v6
	v_sub_f32_e32 v36, v6, v28
	v_mov_b32_e32 v0, v43
	v_mul_f32_e32 v45, 0xbf52af12, v41
	v_add_f32_e32 v50, v29, v7
	s_mov_b32 s3, 0x3f62ad3f
	v_mul_f32_e32 v44, 0xbeedf032, v36
	v_fmac_f32_e32 v0, 0x3f62ad3f, v49
	v_add_f32_e32 v53, v26, v12
	v_sub_f32_e32 v40, v12, v26
	v_mov_b32_e32 v2, v45
	v_add_f32_e32 v0, v0, v4
	v_fma_f32 v1, v50, s3, -v44
	s_mov_b32 s6, 0x3f116cb1
	v_add_f32_e32 v54, v27, v13
	v_mul_f32_e32 v46, 0xbf52af12, v40
	v_fmac_f32_e32 v2, 0x3f116cb1, v53
	v_sub_f32_e32 v108, v15, v25
	v_add_f32_e32 v1, v1, v5
	v_add_f32_e32 v0, v2, v0
	v_fma_f32 v2, v54, s6, -v46
	v_mul_f32_e32 v47, 0xbf7e222b, v108
	v_add_f32_e32 v1, v2, v1
	v_add_f32_e32 v57, v24, v14
	v_sub_f32_e32 v73, v14, v24
	v_mov_b32_e32 v2, v47
	s_mov_b32 s2, 0x3df6dbef
	v_add_f32_e32 v58, v25, v15
	v_mul_f32_e32 v48, 0xbf7e222b, v73
	v_fmac_f32_e32 v2, 0x3df6dbef, v57
	v_sub_f32_e32 v110, v21, v19
	v_add_f32_e32 v0, v2, v0
	v_fma_f32 v2, v58, s2, -v48
	v_mul_f32_e32 v51, 0xbf6f5d39, v110
	v_add_f32_e32 v1, v2, v1
	v_add_f32_e32 v59, v18, v20
	v_sub_f32_e32 v109, v20, v18
	v_mov_b32_e32 v2, v51
	s_mov_b32 s7, 0xbeb58ec6
	v_add_f32_e32 v60, v19, v21
	v_mul_f32_e32 v52, 0xbf6f5d39, v109
	v_fmac_f32_e32 v2, 0xbeb58ec6, v59
	v_sub_f32_e32 v112, v23, v17
	;; [unrolled: 12-line block ×3, first 2 shown]
	v_add_f32_e32 v0, v2, v0
	v_fma_f32 v2, v65, s12, -v56
	v_mul_f32_e32 v61, 0xbe750f2a, v113
	v_add_f32_e32 v1, v2, v1
	v_add_f32_e32 v79, v10, v8
	v_mov_b32_e32 v2, v61
	v_sub_f32_e32 v114, v8, v10
	s_mov_b32 s13, 0xbf788fa5
	v_fmac_f32_e32 v2, 0xbf788fa5, v79
	v_add_f32_e32 v81, v11, v9
	v_mul_f32_e32 v62, 0xbe750f2a, v114
	v_mul_f32_e32 v66, 0xbf52af12, v37
	v_fma_f32 v3, v81, s13, -v62
	v_add_f32_e32 v2, v2, v0
	v_mov_b32_e32 v0, v66
	v_mul_f32_e32 v67, 0xbf6f5d39, v41
	v_add_f32_e32 v3, v3, v1
	v_fmac_f32_e32 v0, 0x3f116cb1, v49
	v_mov_b32_e32 v1, v67
	v_add_f32_e32 v0, v0, v4
	v_fmac_f32_e32 v1, 0xbeb58ec6, v53
	v_mul_f32_e32 v74, 0xbf52af12, v36
	v_add_f32_e32 v0, v1, v0
	v_fma_f32 v1, v50, s6, -v74
	v_mul_f32_e32 v76, 0xbf6f5d39, v40
	v_add_f32_e32 v1, v1, v5
	v_fma_f32 v30, v54, s7, -v76
	v_mul_f32_e32 v68, 0xbe750f2a, v108
	v_add_f32_e32 v1, v30, v1
	v_mov_b32_e32 v30, v68
	v_fmac_f32_e32 v30, 0xbf788fa5, v57
	v_mul_f32_e32 v78, 0xbe750f2a, v73
	v_add_f32_e32 v0, v30, v0
	v_fma_f32 v30, v58, s13, -v78
	v_mul_f32_e32 v72, 0x3f29c268, v110
	v_add_f32_e32 v1, v30, v1
	v_mov_b32_e32 v30, v72
	v_fmac_f32_e32 v30, 0xbf3f9e67, v59
	;; [unrolled: 7-line block ×4, first 2 shown]
	v_mul_f32_e32 v83, 0x3eedf032, v114
	v_add_f32_e32 v0, v30, v0
	v_fma_f32 v30, v81, s3, -v83
	v_mul_f32_e32 v84, 0xbf7e222b, v37
	v_add_f32_e32 v1, v30, v1
	v_mov_b32_e32 v30, v84
	v_mul_f32_e32 v85, 0xbe750f2a, v41
	v_fmac_f32_e32 v30, 0x3df6dbef, v49
	v_mov_b32_e32 v31, v85
	v_add_f32_e32 v30, v30, v4
	v_fmac_f32_e32 v31, 0xbf788fa5, v53
	v_mul_f32_e32 v88, 0xbf7e222b, v36
	v_add_f32_e32 v30, v31, v30
	v_fma_f32 v31, v50, s2, -v88
	v_mul_f32_e32 v90, 0xbe750f2a, v40
	v_add_f32_e32 v31, v31, v5
	v_fma_f32 v32, v54, s13, -v90
	v_mul_f32_e32 v86, 0x3f6f5d39, v108
	v_add_f32_e32 v31, v32, v31
	v_mov_b32_e32 v32, v86
	v_fmac_f32_e32 v32, 0xbeb58ec6, v57
	v_mul_f32_e32 v92, 0x3f6f5d39, v73
	v_add_f32_e32 v30, v32, v30
	v_fma_f32 v32, v58, s7, -v92
	v_mul_f32_e32 v87, 0x3eedf032, v110
	v_add_f32_e32 v31, v32, v31
	v_mov_b32_e32 v32, v87
	v_fmac_f32_e32 v32, 0x3f62ad3f, v59
	;; [unrolled: 7-line block ×4, first 2 shown]
	v_mul_f32_e32 v95, 0xbf29c268, v114
	v_add_f32_e32 v38, v32, v30
	v_fma_f32 v30, v81, s12, -v95
	v_mul_f32_e32 v96, 0xbf6f5d39, v37
	v_add_f32_e32 v39, v30, v31
	v_mov_b32_e32 v30, v96
	v_mul_f32_e32 v97, 0x3f29c268, v41
	v_fmac_f32_e32 v30, 0xbeb58ec6, v49
	v_mov_b32_e32 v31, v97
	v_add_f32_e32 v30, v30, v4
	v_fmac_f32_e32 v31, 0xbf3f9e67, v53
	v_mul_f32_e32 v102, 0xbf6f5d39, v36
	v_add_f32_e32 v30, v31, v30
	v_fma_f32 v31, v50, s7, -v102
	v_mul_f32_e32 v103, 0x3f29c268, v40
	v_add_f32_e32 v31, v31, v5
	v_fma_f32 v32, v54, s12, -v103
	v_mul_f32_e32 v98, 0x3eedf032, v108
	v_add_f32_e32 v31, v32, v31
	v_mov_b32_e32 v32, v98
	v_fmac_f32_e32 v32, 0x3f62ad3f, v57
	v_mul_f32_e32 v104, 0x3eedf032, v73
	v_add_f32_e32 v30, v32, v30
	v_fma_f32 v32, v58, s3, -v104
	v_mul_f32_e32 v99, 0xbf7e222b, v110
	v_add_f32_e32 v31, v32, v31
	v_mov_b32_e32 v32, v99
	v_fmac_f32_e32 v32, 0x3df6dbef, v59
	v_mul_f32_e32 v105, 0xbf7e222b, v109
	v_add_f32_e32 v30, v32, v30
	v_fma_f32 v32, v60, s2, -v105
	v_mul_f32_e32 v100, 0x3e750f2a, v112
	v_add_f32_e32 v31, v32, v31
	v_mov_b32_e32 v32, v100
	v_fmac_f32_e32 v32, 0xbf788fa5, v63
	v_mul_f32_e32 v106, 0x3e750f2a, v111
	v_add_f32_e32 v30, v32, v30
	v_fma_f32 v32, v65, s13, -v106
	v_mul_f32_e32 v101, 0x3f52af12, v113
	v_add_f32_e32 v31, v32, v31
	v_mov_b32_e32 v32, v101
	v_fmac_f32_e32 v32, 0x3f116cb1, v79
	v_mul_f32_e32 v107, 0x3f52af12, v114
	v_add_f32_e32 v32, v32, v30
	v_fma_f32 v30, v81, s6, -v107
	v_mul_f32_e32 v34, 0xbf29c268, v37
	v_add_f32_e32 v33, v30, v31
	v_fma_f32 v30, v49, s12, -v34
	;; [unrolled: 3-line block ×3, first 2 shown]
	v_mul_f32_e32 v115, 0xbf29c268, v36
	v_add_f32_e32 v30, v31, v30
	v_mov_b32_e32 v31, v115
	v_mul_f32_e32 v116, 0x3f7e222b, v40
	v_fmac_f32_e32 v31, 0xbf3f9e67, v50
	v_mov_b32_e32 v117, v116
	v_add_f32_e32 v31, v31, v5
	v_fmac_f32_e32 v117, 0x3df6dbef, v54
	v_add_f32_e32 v31, v117, v31
	v_mul_f32_e32 v117, 0xbf52af12, v108
	v_fma_f32 v118, v57, s6, -v117
	v_add_f32_e32 v30, v118, v30
	v_mul_f32_e32 v118, 0xbf52af12, v73
	v_mov_b32_e32 v119, v118
	v_fmac_f32_e32 v119, 0x3f116cb1, v58
	v_add_f32_e32 v31, v119, v31
	v_mul_f32_e32 v119, 0x3e750f2a, v110
	v_fma_f32 v120, v59, s13, -v119
	v_add_f32_e32 v30, v120, v30
	v_mul_f32_e32 v120, 0x3e750f2a, v109
	v_mov_b32_e32 v121, v120
	v_fmac_f32_e32 v121, 0xbf788fa5, v60
	v_add_f32_e32 v31, v121, v31
	v_mul_f32_e32 v121, 0x3eedf032, v112
	v_fma_f32 v122, v63, s3, -v121
	v_fmac_f32_e32 v34, 0xbf3f9e67, v49
	v_add_f32_e32 v30, v122, v30
	v_mul_f32_e32 v122, 0x3eedf032, v111
	v_add_f32_e32 v34, v34, v4
	v_fmac_f32_e32 v35, 0x3df6dbef, v53
	v_mov_b32_e32 v123, v122
	v_add_f32_e32 v34, v35, v34
	v_fma_f32 v35, v50, s12, -v115
	v_fmac_f32_e32 v123, 0x3f62ad3f, v65
	v_add_f32_e32 v35, v35, v5
	v_fma_f32 v115, v54, s2, -v116
	v_add_f32_e32 v31, v123, v31
	v_mul_f32_e32 v123, 0xbf6f5d39, v113
	v_add_f32_e32 v35, v115, v35
	v_fma_f32 v115, v58, s6, -v118
	v_fma_f32 v124, v79, s7, -v123
	v_add_f32_e32 v35, v115, v35
	v_fma_f32 v115, v60, s13, -v120
	v_add_f32_e32 v30, v124, v30
	v_mul_f32_e32 v124, 0xbf6f5d39, v114
	v_add_f32_e32 v35, v115, v35
	v_fma_f32 v115, v65, s3, -v122
	v_add_f32_e32 v35, v115, v35
	v_fma_f32 v115, v81, s7, -v124
	v_add_f32_e32 v35, v115, v35
	v_mul_f32_e32 v115, 0xbe750f2a, v37
	v_fma_f32 v37, v49, s13, -v115
	v_mul_f32_e32 v41, 0x3eedf032, v41
	v_add_f32_e32 v37, v37, v4
	v_fma_f32 v116, v53, s3, -v41
	v_add_f32_e32 v37, v116, v37
	v_mul_f32_e32 v116, 0xbe750f2a, v36
	v_fmac_f32_e32 v117, 0x3f116cb1, v57
	v_mov_b32_e32 v36, v116
	v_mul_f32_e32 v40, 0x3eedf032, v40
	v_add_f32_e32 v34, v117, v34
	v_fmac_f32_e32 v36, 0xbf788fa5, v50
	v_mov_b32_e32 v117, v40
	v_add_f32_e32 v36, v36, v5
	v_fmac_f32_e32 v117, 0x3f62ad3f, v54
	v_mul_f32_e32 v108, 0xbf29c268, v108
	v_add_f32_e32 v36, v117, v36
	v_fma_f32 v117, v57, s12, -v108
	v_mul_f32_e32 v73, 0xbf29c268, v73
	v_add_f32_e32 v37, v117, v37
	v_mov_b32_e32 v117, v73
	v_fmac_f32_e32 v117, 0xbf3f9e67, v58
	v_mul_f32_e32 v110, 0x3f52af12, v110
	v_fmac_f32_e32 v115, 0xbf788fa5, v49
	v_add_f32_e32 v36, v117, v36
	v_fma_f32 v117, v59, s6, -v110
	v_mul_f32_e32 v109, 0x3f52af12, v109
	v_add_f32_e32 v115, v115, v4
	v_fmac_f32_e32 v41, 0x3f62ad3f, v53
	v_add_f32_e32 v37, v117, v37
	v_mov_b32_e32 v117, v109
	v_add_f32_e32 v41, v41, v115
	v_fma_f32 v115, v50, s13, -v116
	v_fmac_f32_e32 v117, 0x3f116cb1, v60
	v_mul_f32_e32 v112, 0xbf6f5d39, v112
	v_add_f32_e32 v115, v115, v5
	v_fma_f32 v40, v54, s3, -v40
	v_add_f32_e32 v36, v117, v36
	v_fma_f32 v117, v63, s7, -v112
	v_mul_f32_e32 v111, 0xbf6f5d39, v111
	v_add_f32_e32 v40, v40, v115
	v_fma_f32 v73, v58, s12, -v73
	v_add_f32_e32 v37, v117, v37
	v_mov_b32_e32 v117, v111
	v_fmac_f32_e32 v108, 0xbf3f9e67, v57
	v_add_f32_e32 v40, v73, v40
	v_fma_f32 v73, v60, s6, -v109
	v_fmac_f32_e32 v117, 0xbeb58ec6, v65
	v_mul_f32_e32 v113, 0x3f7e222b, v113
	v_add_f32_e32 v41, v108, v41
	v_fmac_f32_e32 v110, 0x3f116cb1, v59
	v_add_f32_e32 v40, v73, v40
	v_fma_f32 v73, v65, s7, -v111
	s_load_dwordx2 s[6:7], s[4:5], 0x20
	s_load_dwordx2 s[12:13], s[4:5], 0x8
	v_fmac_f32_e32 v119, 0xbf788fa5, v59
	v_add_f32_e32 v117, v117, v36
	v_fma_f32 v36, v79, s2, -v113
	v_mul_f32_e32 v114, 0x3f7e222b, v114
	v_add_f32_e32 v41, v110, v41
	v_fmac_f32_e32 v112, 0xbeb58ec6, v63
	v_mov_b32_e32 v125, v124
	v_add_f32_e32 v34, v119, v34
	v_fmac_f32_e32 v121, 0x3f62ad3f, v63
	v_add_f32_e32 v36, v36, v37
	v_mov_b32_e32 v37, v114
	v_add_f32_e32 v41, v112, v41
	v_fmac_f32_e32 v113, 0x3df6dbef, v79
	v_fmac_f32_e32 v125, 0xbeb58ec6, v81
	v_add_f32_e32 v34, v121, v34
	v_fmac_f32_e32 v123, 0xbeb58ec6, v79
	v_fmac_f32_e32 v37, 0x3df6dbef, v81
	v_add_f32_e32 v73, v73, v40
	v_add_f32_e32 v40, v113, v41
	v_fma_f32 v41, v81, s2, -v114
	v_add_f32_e32 v31, v125, v31
	v_add_f32_e32 v34, v123, v34
	v_add_f32_e32 v37, v37, v117
	v_add_f32_e32 v41, v41, v73
	v_mul_lo_u16_e32 v73, 13, v70
	s_waitcnt lgkmcnt(0)
	s_barrier
	s_and_saveexec_b64 s[2:3], s[0:1]
	s_cbranch_execz .LBB0_7
; %bb.6:
	v_mul_f32_e32 v109, 0x3f62ad3f, v50
	v_mul_f32_e32 v111, 0x3f116cb1, v50
	;; [unrolled: 1-line block ×8, first 2 shown]
	v_add_f32_e32 v50, v102, v50
	v_mul_f32_e32 v121, 0x3df6dbef, v58
	v_mul_f32_e32 v123, 0xbf788fa5, v58
	;; [unrolled: 1-line block ×4, first 2 shown]
	v_add_f32_e32 v54, v103, v54
	v_add_f32_e32 v50, v50, v5
	;; [unrolled: 1-line block ×4, first 2 shown]
	v_mul_f32_e32 v108, 0x3f62ad3f, v49
	v_mul_f32_e32 v110, 0x3f116cb1, v49
	;; [unrolled: 1-line block ×4, first 2 shown]
	v_add_f32_e32 v50, v54, v50
	v_mul_f32_e32 v54, 0x3df6dbef, v60
	v_mul_f32_e32 v114, 0x3f116cb1, v53
	v_mul_f32_e32 v116, 0xbeb58ec6, v53
	v_mul_f32_e32 v118, 0xbf788fa5, v53
	v_mul_f32_e32 v53, 0xbf3f9e67, v53
	v_add_f32_e32 v54, v105, v54
	v_sub_f32_e32 v49, v49, v96
	v_mul_f32_e32 v120, 0x3df6dbef, v57
	v_mul_f32_e32 v122, 0xbf788fa5, v57
	;; [unrolled: 1-line block ×4, first 2 shown]
	v_add_f32_e32 v50, v54, v50
	v_mul_f32_e32 v54, 0xbf788fa5, v65
	v_sub_f32_e32 v53, v53, v97
	v_add_f32_e32 v49, v49, v4
	v_mul_f32_e32 v102, 0xbeb58ec6, v59
	v_mul_f32_e32 v126, 0xbf3f9e67, v59
	;; [unrolled: 1-line block ×4, first 2 shown]
	v_add_f32_e32 v54, v106, v54
	v_add_f32_e32 v49, v53, v49
	v_sub_f32_e32 v57, v57, v98
	v_mul_f32_e32 v105, 0xbf3f9e67, v63
	v_add_f32_e32 v50, v54, v50
	v_mul_f32_e32 v54, 0x3f116cb1, v81
	v_mul_f32_e32 v96, 0x3df6dbef, v63
	;; [unrolled: 1-line block ×4, first 2 shown]
	v_add_f32_e32 v49, v57, v49
	v_sub_f32_e32 v57, v59, v99
	v_add_f32_e32 v54, v107, v54
	v_mul_f32_e32 v98, 0xbf788fa5, v79
	v_mul_f32_e32 v59, 0x3f62ad3f, v79
	v_add_f32_e32 v49, v57, v49
	v_sub_f32_e32 v63, v63, v100
	v_mul_f32_e32 v99, 0xbf3f9e67, v79
	v_mul_f32_e32 v79, 0x3f116cb1, v79
	v_add_f32_e32 v50, v54, v50
	v_add_f32_e32 v49, v63, v49
	v_sub_f32_e32 v54, v79, v101
	v_add_f32_e32 v49, v54, v49
	v_add_f32_e32 v54, v88, v113
	;; [unrolled: 1-line block ×4, first 2 shown]
	v_mul_f32_e32 v103, 0xbeb58ec6, v60
	v_mul_f32_e32 v58, 0xbf3f9e67, v60
	v_mul_f32_e32 v60, 0x3f62ad3f, v60
	v_add_f32_e32 v54, v63, v54
	v_add_f32_e32 v63, v92, v125
	v_mul_f32_e32 v106, 0xbf3f9e67, v65
	v_mul_f32_e32 v97, 0x3df6dbef, v65
	v_mul_f32_e32 v65, 0x3f116cb1, v65
	v_add_f32_e32 v54, v63, v54
	v_add_f32_e32 v60, v93, v60
	;; [unrolled: 5-line block ×3, first 2 shown]
	v_add_f32_e32 v54, v60, v54
	v_add_f32_e32 v60, v95, v81
	;; [unrolled: 1-line block ×3, first 2 shown]
	v_sub_f32_e32 v60, v112, v84
	v_add_f32_e32 v60, v60, v4
	v_sub_f32_e32 v63, v118, v85
	v_add_f32_e32 v60, v63, v60
	;; [unrolled: 2-line block ×6, first 2 shown]
	v_add_f32_e32 v60, v74, v111
	v_add_f32_e32 v60, v60, v5
	;; [unrolled: 1-line block ×12, first 2 shown]
	v_sub_f32_e32 v57, v110, v66
	v_add_f32_e32 v44, v44, v109
	v_sub_f32_e32 v43, v108, v43
	v_add_f32_e32 v57, v57, v4
	v_add_f32_e32 v44, v44, v5
	;; [unrolled: 1-line block ×16, first 2 shown]
	v_sub_f32_e32 v45, v114, v45
	v_add_f32_e32 v5, v11, v5
	v_add_f32_e32 v4, v10, v4
	v_sub_f32_e32 v60, v116, v67
	v_add_f32_e32 v44, v46, v44
	v_add_f32_e32 v46, v48, v121
	v_add_f32_e32 v43, v45, v43
	v_sub_f32_e32 v45, v120, v47
	v_add_f32_e32 v5, v17, v5
	;; [unrolled: 4-line block ×9, first 2 shown]
	v_add_f32_e32 v43, v45, v43
	v_add_f32_e32 v5, v29, v5
	;; [unrolled: 1-line block ×3, first 2 shown]
	v_add_lshl_u32 v6, v42, v73, 3
	v_add_f32_e32 v57, v59, v57
	ds_write2_b64 v6, v[4:5], v[43:44] offset1:1
	ds_write2_b64 v6, v[57:58], v[53:54] offset0:2 offset1:3
	ds_write2_b64 v6, v[49:50], v[30:31] offset0:4 offset1:5
	;; [unrolled: 1-line block ×5, first 2 shown]
	ds_write_b64 v6, v[2:3] offset:96
.LBB0_7:
	s_or_b64 exec, exec, s[2:3]
	v_add_lshl_u32 v72, v42, v70, 3
	v_add_u32_e32 v4, 0x400, v72
	s_waitcnt lgkmcnt(0)
	s_barrier
	ds_read2_b64 v[20:23], v72 offset1:117
	ds_read2_b64 v[24:27], v4 offset0:106 offset1:223
	ds_read_b64 v[28:29], v72 offset:3744
	v_cmp_gt_u16_e64 s[2:3], 52, v70
	s_and_saveexec_b64 s[4:5], s[2:3]
	s_cbranch_execz .LBB0_9
; %bb.8:
	v_add_u32_e32 v4, 0x800, v72
	ds_read2_b64 v[4:7], v4 offset0:43 offset1:160
	ds_read2_b64 v[8:11], v72 offset0:65 offset1:182
	ds_read_b64 v[32:33], v72 offset:4264
	s_waitcnt lgkmcnt(2)
	v_mov_b32_e32 v40, v4
	v_mov_b32_e32 v41, v5
	;; [unrolled: 1-line block ×4, first 2 shown]
	s_waitcnt lgkmcnt(1)
	v_mov_b32_e32 v36, v10
	v_mov_b32_e32 v37, v11
	;; [unrolled: 1-line block ×4, first 2 shown]
.LBB0_9:
	s_or_b64 exec, exec, s[4:5]
	s_movk_i32 s4, 0x4f
	v_mul_lo_u16_sdwa v4, v70, s4 dst_sel:DWORD dst_unused:UNUSED_PAD src0_sel:BYTE_0 src1_sel:DWORD
	v_lshrrev_b16_e32 v53, 10, v4
	v_mul_lo_u16_e32 v4, 13, v53
	v_sub_u16_e32 v54, v70, v4
	v_mov_b32_e32 v4, 5
	v_lshlrev_b32_sdwa v5, v4, v54 dst_sel:DWORD dst_unused:UNUSED_PAD src0_sel:DWORD src1_sel:BYTE_0
	global_load_dwordx4 v[16:19], v5, s[12:13]
	global_load_dwordx4 v[12:15], v5, s[12:13] offset:16
	v_add_u16_e32 v5, 0x41, v70
	v_mul_lo_u16_sdwa v6, v5, s4 dst_sel:DWORD dst_unused:UNUSED_PAD src0_sel:BYTE_0 src1_sel:DWORD
	v_lshrrev_b16_e32 v74, 10, v6
	v_mul_lo_u16_e32 v6, 13, v74
	v_sub_u16_e32 v75, v5, v6
	v_lshlrev_b32_sdwa v43, v4, v75 dst_sel:DWORD dst_unused:UNUSED_PAD src0_sel:DWORD src1_sel:BYTE_0
	global_load_dwordx4 v[8:11], v43, s[12:13]
	global_load_dwordx4 v[4:7], v43, s[12:13] offset:16
	s_load_dwordx4 s[4:7], s[6:7], 0x0
	v_mul_u32_u24_e32 v53, 0x41, v53
	v_add_u32_sdwa v53, v53, v54 dst_sel:DWORD dst_unused:UNUSED_PAD src0_sel:DWORD src1_sel:BYTE_0
	v_add_lshl_u32 v77, v42, v53, 3
	s_waitcnt vmcnt(0) lgkmcnt(0)
	s_barrier
	v_mul_f32_e32 v47, v23, v17
	v_mul_f32_e32 v57, v26, v13
	;; [unrolled: 1-line block ×5, first 2 shown]
	v_fma_f32 v47, v22, v16, -v47
	v_fmac_f32_e32 v57, v27, v12
	v_mul_f32_e32 v43, v36, v9
	v_fma_f32 v27, v28, v14, -v50
	v_mul_f32_e32 v55, v22, v17
	v_mul_f32_e32 v56, v24, v19
	v_mul_f32_e32 v58, v28, v15
	v_mul_f32_e32 v51, v37, v9
	v_mul_f32_e32 v52, v41, v11
	v_mul_f32_e32 v44, v40, v11
	v_fma_f32 v48, v24, v18, -v48
	v_fma_f32 v26, v26, v12, -v49
	v_fmac_f32_e32 v43, v37, v8
	v_add_f32_e32 v37, v47, v27
	v_mul_f32_e32 v59, v35, v5
	v_mul_f32_e32 v46, v32, v7
	v_fmac_f32_e32 v55, v23, v16
	v_fmac_f32_e32 v56, v25, v18
	;; [unrolled: 1-line block ×3, first 2 shown]
	v_fma_f32 v23, v40, v10, -v52
	v_fmac_f32_e32 v44, v41, v10
	v_add_f32_e32 v29, v48, v26
	v_sub_f32_e32 v41, v48, v47
	v_sub_f32_e32 v49, v26, v27
	v_fma_f32 v40, -0.5, v37, v20
	v_mul_f32_e32 v45, v34, v5
	v_mul_f32_e32 v60, v33, v7
	v_fma_f32 v24, v34, v4, -v59
	v_fmac_f32_e32 v46, v33, v6
	v_add_f32_e32 v28, v20, v47
	v_sub_f32_e32 v33, v56, v57
	v_fma_f32 v34, -0.5, v29, v20
	v_add_f32_e32 v20, v41, v49
	v_mov_b32_e32 v49, v40
	v_fma_f32 v25, v32, v6, -v60
	v_sub_f32_e32 v32, v55, v58
	v_fmac_f32_e32 v40, 0x3f737871, v33
	v_fmac_f32_e32 v49, 0xbf737871, v33
	;; [unrolled: 1-line block ×6, first 2 shown]
	v_add_f32_e32 v20, v55, v58
	v_fma_f32 v22, v36, v8, -v51
	v_fmac_f32_e32 v45, v35, v4
	v_sub_f32_e32 v35, v47, v48
	v_sub_f32_e32 v36, v27, v26
	v_add_f32_e32 v50, v21, v55
	v_add_f32_e32 v51, v56, v57
	v_sub_f32_e32 v59, v47, v27
	v_sub_f32_e32 v47, v55, v56
	;; [unrolled: 1-line block ×3, first 2 shown]
	v_fma_f32 v41, -0.5, v20, v21
	v_sub_f32_e32 v60, v48, v26
	v_add_f32_e32 v28, v28, v48
	v_add_f32_e32 v29, v35, v36
	;; [unrolled: 1-line block ×3, first 2 shown]
	v_fma_f32 v35, -0.5, v51, v21
	v_add_f32_e32 v37, v47, v52
	v_mov_b32_e32 v47, v34
	v_mov_b32_e32 v50, v41
	v_add_f32_e32 v26, v28, v26
	v_fmac_f32_e32 v34, 0xbf737871, v32
	v_mov_b32_e32 v48, v35
	v_fmac_f32_e32 v47, 0x3f737871, v32
	v_fmac_f32_e32 v50, 0x3f737871, v60
	v_sub_f32_e32 v20, v56, v55
	v_sub_f32_e32 v21, v57, v58
	v_fmac_f32_e32 v41, 0xbf737871, v60
	v_add_f32_e32 v51, v26, v27
	v_fmac_f32_e32 v34, 0xbf167918, v33
	v_fmac_f32_e32 v48, 0xbf737871, v59
	;; [unrolled: 1-line block ×5, first 2 shown]
	v_add_f32_e32 v20, v20, v21
	v_fmac_f32_e32 v41, 0x3f167918, v59
	v_sub_f32_e32 v26, v22, v23
	v_sub_f32_e32 v27, v25, v24
	v_add_f32_e32 v28, v36, v57
	v_fmac_f32_e32 v34, 0x3e9e377a, v29
	v_fmac_f32_e32 v48, 0xbf167918, v60
	;; [unrolled: 1-line block ×6, first 2 shown]
	v_add_f32_e32 v20, v23, v24
	v_add_f32_e32 v29, v26, v27
	;; [unrolled: 1-line block ×4, first 2 shown]
	v_fmac_f32_e32 v48, 0x3e9e377a, v37
	v_fmac_f32_e32 v35, 0x3e9e377a, v37
	v_fma_f32 v28, -0.5, v20, v30
	v_fma_f32 v32, -0.5, v26, v31
	v_sub_f32_e32 v33, v43, v44
	v_sub_f32_e32 v37, v46, v45
	;; [unrolled: 1-line block ×3, first 2 shown]
	v_mov_b32_e32 v36, v28
	v_sub_f32_e32 v26, v22, v25
	v_add_f32_e32 v33, v33, v37
	v_mov_b32_e32 v37, v32
	v_sub_f32_e32 v21, v44, v45
	v_fmac_f32_e32 v36, 0xbf737871, v20
	v_sub_f32_e32 v27, v23, v24
	v_fmac_f32_e32 v37, 0x3f737871, v26
	v_fmac_f32_e32 v36, 0xbf167918, v21
	;; [unrolled: 1-line block ×5, first 2 shown]
	ds_write2_b64 v77, v[51:52], v[47:48] offset1:13
	ds_write2_b64 v77, v[49:50], v[40:41] offset0:26 offset1:39
	ds_write_b64 v77, v[34:35] offset:416
	s_and_saveexec_b64 s[14:15], s[2:3]
	s_cbranch_execz .LBB0_11
; %bb.10:
	v_mul_f32_e32 v34, 0x3f737871, v20
	v_mul_f32_e32 v35, 0x3f167918, v21
	;; [unrolled: 1-line block ×4, first 2 shown]
	v_add_f32_e32 v28, v28, v34
	v_sub_f32_e32 v29, v32, v29
	v_add_f32_e32 v28, v35, v28
	v_add_f32_e32 v32, v31, v43
	v_sub_f32_e32 v34, v44, v43
	v_sub_f32_e32 v35, v45, v46
	v_mul_f32_e32 v41, 0x3f167918, v27
	v_add_f32_e32 v32, v32, v44
	v_add_f32_e32 v34, v34, v35
	v_add_f32_e32 v35, v43, v46
	v_mul_f32_e32 v33, 0x3e9e377a, v33
	v_sub_f32_e32 v29, v29, v41
	v_add_f32_e32 v32, v32, v45
	v_fmac_f32_e32 v31, -0.5, v35
	v_add_f32_e32 v29, v33, v29
	v_add_f32_e32 v33, v32, v46
	v_add_f32_e32 v32, v30, v22
	v_mov_b32_e32 v35, v31
	v_add_f32_e32 v32, v32, v23
	v_fmac_f32_e32 v35, 0xbf737871, v27
	v_fmac_f32_e32 v31, 0x3f737871, v27
	v_sub_f32_e32 v23, v23, v22
	v_add_f32_e32 v22, v22, v25
	v_fmac_f32_e32 v35, 0x3f167918, v26
	v_fmac_f32_e32 v31, 0xbf167918, v26
	v_fmac_f32_e32 v30, -0.5, v22
	v_fmac_f32_e32 v35, 0x3e9e377a, v34
	v_fmac_f32_e32 v31, 0x3e9e377a, v34
	v_mov_b32_e32 v34, v30
	v_fmac_f32_e32 v34, 0x3f737871, v21
	v_fmac_f32_e32 v30, 0xbf737871, v21
	;; [unrolled: 1-line block ×4, first 2 shown]
	v_mul_u32_u24_e32 v20, 0x41, v74
	v_add_f32_e32 v32, v32, v24
	v_sub_f32_e32 v24, v24, v25
	v_add_u32_sdwa v20, v20, v75 dst_sel:DWORD dst_unused:UNUSED_PAD src0_sel:DWORD src1_sel:BYTE_0
	v_add_f32_e32 v28, v40, v28
	v_add_f32_e32 v32, v32, v25
	;; [unrolled: 1-line block ×3, first 2 shown]
	v_add_lshl_u32 v20, v42, v20, 3
	v_fmac_f32_e32 v34, 0x3e9e377a, v23
	v_fmac_f32_e32 v30, 0x3e9e377a, v23
	ds_write2_b64 v20, v[32:33], v[28:29] offset1:13
	ds_write2_b64 v20, v[30:31], v[34:35] offset0:26 offset1:39
	ds_write_b64 v20, v[36:37] offset:416
.LBB0_11:
	s_or_b64 exec, exec, s[14:15]
	v_lshlrev_b32_e32 v40, 6, v70
	s_waitcnt lgkmcnt(0)
	s_barrier
	global_load_dwordx4 v[32:35], v40, s[12:13] offset:416
	global_load_dwordx4 v[28:31], v40, s[12:13] offset:432
	;; [unrolled: 1-line block ×4, first 2 shown]
	v_add_u32_e32 v44, 0x400, v72
	v_add_u32_e32 v48, 0x800, v72
	;; [unrolled: 1-line block ×3, first 2 shown]
	ds_read_b64 v[56:57], v72
	ds_read2_b64 v[40:43], v72 offset0:65 offset1:130
	ds_read2_b64 v[44:47], v44 offset0:67 offset1:132
	ds_read2_b64 v[48:51], v48 offset0:69 offset1:134
	ds_read2_b64 v[52:55], v52 offset0:71 offset1:136
	s_mov_b32 s12, 0xbf248dbb
	s_waitcnt lgkmcnt(4)
	v_mov_b32_e32 v59, v57
	v_mov_b32_e32 v58, v56
	s_waitcnt vmcnt(3) lgkmcnt(3)
	v_mul_f32_e32 v60, v41, v33
	v_mul_f32_e32 v61, v40, v33
	s_waitcnt vmcnt(2) lgkmcnt(2)
	v_mul_f32_e32 v66, v44, v29
	s_waitcnt vmcnt(0) lgkmcnt(0)
	v_mul_f32_e32 v83, v55, v23
	v_mul_f32_e32 v84, v54, v23
	;; [unrolled: 1-line block ×11, first 2 shown]
	v_fma_f32 v40, v40, v32, -v60
	v_fmac_f32_e32 v61, v41, v32
	v_fmac_f32_e32 v66, v45, v28
	v_fma_f32 v45, v54, v22, -v83
	v_fmac_f32_e32 v84, v55, v22
	v_mul_f32_e32 v68, v46, v31
	v_mul_f32_e32 v78, v48, v25
	v_fma_f32 v41, v42, v34, -v62
	v_fmac_f32_e32 v63, v43, v34
	v_fma_f32 v42, v44, v28, -v65
	v_fma_f32 v60, v46, v30, -v67
	v_fma_f32 v62, v48, v24, -v76
	v_fma_f32 v43, v50, v26, -v79
	v_fmac_f32_e32 v80, v51, v26
	v_fma_f32 v44, v52, v20, -v81
	v_fmac_f32_e32 v82, v53, v20
	v_add_f32_e32 v51, v61, v84
	v_sub_f32_e32 v65, v40, v45
	v_fmac_f32_e32 v68, v47, v30
	v_fmac_f32_e32 v78, v49, v24
	v_add_f32_e32 v50, v40, v45
	v_add_f32_e32 v52, v41, v44
	;; [unrolled: 1-line block ×5, first 2 shown]
	v_sub_f32_e32 v61, v61, v84
	v_sub_f32_e32 v79, v41, v44
	;; [unrolled: 1-line block ×5, first 2 shown]
	v_mul_f32_e32 v42, 0x3f248dbb, v65
	v_fmac_f32_e32 v59, 0x3f441b7d, v51
	v_sub_f32_e32 v63, v63, v82
	v_sub_f32_e32 v82, v68, v78
	v_add_f32_e32 v83, v60, v62
	v_mul_f32_e32 v43, 0x3f248dbb, v61
	v_fmac_f32_e32 v58, 0x3f441b7d, v50
	v_fmac_f32_e32 v42, 0x3f7c1c5c, v79
	v_fmac_f32_e32 v59, 0x3e31d0d4, v53
	v_add_f32_e32 v48, v80, v65
	v_add_f32_e32 v85, v52, v50
	;; [unrolled: 1-line block ×3, first 2 shown]
	v_fmac_f32_e32 v43, 0x3f7c1c5c, v63
	v_fmac_f32_e32 v58, 0x3e31d0d4, v52
	;; [unrolled: 1-line block ×3, first 2 shown]
	v_fmac_f32_e32 v59, -0.5, v76
	v_add_f32_e32 v49, v82, v61
	v_sub_f32_e32 v54, v48, v79
	v_add_f32_e32 v48, v67, v56
	v_add_f32_e32 v86, v53, v51
	;; [unrolled: 1-line block ×3, first 2 shown]
	v_fmac_f32_e32 v43, 0x3f5db3d7, v66
	v_fmac_f32_e32 v58, -0.5, v67
	v_fmac_f32_e32 v42, 0x3eaf1d44, v80
	v_fmac_f32_e32 v59, 0xbf708fb2, v84
	v_sub_f32_e32 v55, v49, v63
	v_add_f32_e32 v49, v76, v57
	v_add_f32_e32 v88, v84, v86
	v_fmac_f32_e32 v48, -0.5, v87
	v_fmac_f32_e32 v43, 0x3eaf1d44, v82
	v_fmac_f32_e32 v58, 0xbf708fb2, v83
	v_sub_f32_e32 v41, v59, v42
	v_mul_f32_e32 v59, 0x3f5db3d7, v55
	v_fmac_f32_e32 v49, -0.5, v88
	v_fmac_f32_e32 v48, 0x3f5db3d7, v55
	v_mul_f32_e32 v44, 0xbf248dbb, v82
	v_add_f32_e32 v40, v43, v58
	v_mul_f32_e32 v58, 0x3f5db3d7, v54
	v_fmac_f32_e32 v49, 0xbf5db3d7, v54
	v_fma_f32 v54, -2.0, v59, v48
	v_mul_f32_e32 v59, 0x3f7c1c5c, v82
	v_fmac_f32_e32 v44, 0x3f7c1c5c, v61
	v_fma_f32 v59, v63, s12, -v59
	v_fmac_f32_e32 v44, 0xbf5db3d7, v66
	v_fmac_f32_e32 v59, 0x3f5db3d7, v66
	;; [unrolled: 1-line block ×3, first 2 shown]
	v_fma_f32 v55, 2.0, v58, v49
	v_mul_f32_e32 v58, 0x3f7c1c5c, v80
	v_fmac_f32_e32 v59, 0x3eaf1d44, v61
	v_add_f32_e32 v61, v67, v85
	v_add_f32_e32 v63, v76, v86
	v_fma_f32 v58, v79, s12, -v58
	v_add_f32_e32 v60, v60, v61
	v_add_f32_e32 v61, v68, v63
	v_mul_f32_e32 v45, 0xbf248dbb, v80
	v_fma_f32 v46, -2.0, v43, v40
	v_fma_f32 v47, 2.0, v42, v41
	v_mov_b32_e32 v42, v56
	v_mov_b32_e32 v43, v57
	v_fmac_f32_e32 v58, 0x3f5db3d7, v81
	v_add_f32_e32 v60, v62, v60
	v_add_f32_e32 v61, v78, v61
	v_fmac_f32_e32 v45, 0x3f7c1c5c, v65
	v_fmac_f32_e32 v42, 0x3f441b7d, v83
	;; [unrolled: 1-line block ×4, first 2 shown]
	v_add_f32_e32 v65, v60, v56
	v_add_f32_e32 v66, v61, v57
	v_fmac_f32_e32 v56, 0x3f441b7d, v52
	v_fmac_f32_e32 v57, 0x3f441b7d, v53
	;; [unrolled: 1-line block ×7, first 2 shown]
	v_fmac_f32_e32 v42, -0.5, v67
	v_fmac_f32_e32 v43, -0.5, v76
	;; [unrolled: 1-line block ×4, first 2 shown]
	v_fmac_f32_e32 v45, 0x3eaf1d44, v79
	v_fmac_f32_e32 v42, 0xbf708fb2, v52
	;; [unrolled: 1-line block ×5, first 2 shown]
	v_add_f32_e32 v42, v44, v42
	v_sub_f32_e32 v43, v43, v45
	v_add_f32_e32 v50, v59, v56
	v_sub_f32_e32 v51, v57, v58
	v_lshl_add_u32 v76, v70, 3, v71
	v_fma_f32 v44, -2.0, v44, v42
	v_fma_f32 v45, 2.0, v45, v43
	v_fma_f32 v52, -2.0, v59, v50
	v_fma_f32 v53, 2.0, v58, v51
	v_add_u32_e32 v58, 0x400, v76
	v_add_u32_e32 v57, 0x800, v76
	;; [unrolled: 1-line block ×3, first 2 shown]
	ds_write_b64 v76, v[65:66]
	ds_write2_b64 v76, v[40:41], v[42:43] offset0:65 offset1:130
	ds_write2_b64 v58, v[48:49], v[50:51] offset0:67 offset1:132
	;; [unrolled: 1-line block ×4, first 2 shown]
	s_waitcnt lgkmcnt(0)
	s_barrier
	s_and_saveexec_b64 s[12:13], s[0:1]
	s_cbranch_execz .LBB0_13
; %bb.12:
	v_add_co_u32_e32 v82, vcc, s8, v69
	v_mov_b32_e32 v59, s9
	v_addc_co_u32_e32 v83, vcc, 0, v59, vcc
	v_add_co_u32_e32 v67, vcc, 0x1248, v82
	v_addc_co_u32_e32 v68, vcc, 0, v83, vcc
	v_add_co_u32_e32 v61, vcc, 0x1000, v82
	v_addc_co_u32_e32 v62, vcc, 0, v83, vcc
	global_load_dwordx2 v[61:62], v[61:62], off offset:584
	ds_read_b64 v[59:60], v76
	s_waitcnt vmcnt(0) lgkmcnt(0)
	v_mul_f32_e32 v63, v60, v62
	v_mul_f32_e32 v79, v59, v62
	v_fma_f32 v78, v59, v61, -v63
	v_fmac_f32_e32 v79, v60, v61
	ds_write_b64 v76, v[78:79]
	global_load_dwordx2 v[78:79], v[67:68], off offset:360
	ds_read2_b64 v[59:62], v76 offset0:45 offset1:90
	s_waitcnt vmcnt(0) lgkmcnt(0)
	v_mul_f32_e32 v63, v60, v79
	v_mul_f32_e32 v81, v59, v79
	v_fma_f32 v80, v59, v78, -v63
	v_fmac_f32_e32 v81, v60, v78
	global_load_dwordx2 v[59:60], v[67:68], off offset:720
	s_waitcnt vmcnt(0)
	v_mul_f32_e32 v63, v62, v60
	v_mul_f32_e32 v79, v61, v60
	v_fma_f32 v78, v61, v59, -v63
	v_fmac_f32_e32 v79, v62, v59
	ds_write2_b64 v76, v[80:81], v[78:79] offset0:45 offset1:90
	global_load_dwordx2 v[78:79], v[67:68], off offset:1080
	ds_read2_b64 v[59:62], v76 offset0:135 offset1:180
	s_waitcnt vmcnt(0) lgkmcnt(0)
	v_mul_f32_e32 v63, v60, v79
	v_mul_f32_e32 v81, v59, v79
	v_fma_f32 v80, v59, v78, -v63
	v_fmac_f32_e32 v81, v60, v78
	global_load_dwordx2 v[59:60], v[67:68], off offset:1440
	s_waitcnt vmcnt(0)
	v_mul_f32_e32 v63, v62, v60
	v_mul_f32_e32 v79, v61, v60
	v_fma_f32 v78, v61, v59, -v63
	v_fmac_f32_e32 v79, v62, v59
	ds_write2_b64 v76, v[80:81], v[78:79] offset0:135 offset1:180
	global_load_dwordx2 v[78:79], v[67:68], off offset:1800
	ds_read2_b64 v[59:62], v58 offset0:97 offset1:142
	s_waitcnt vmcnt(0) lgkmcnt(0)
	v_mul_f32_e32 v63, v60, v79
	v_mul_f32_e32 v81, v59, v79
	v_fma_f32 v80, v59, v78, -v63
	v_fmac_f32_e32 v81, v60, v78
	global_load_dwordx2 v[59:60], v[67:68], off offset:2160
	s_waitcnt vmcnt(0)
	v_mul_f32_e32 v63, v62, v60
	v_mul_f32_e32 v79, v61, v60
	v_fma_f32 v78, v61, v59, -v63
	v_fmac_f32_e32 v79, v62, v59
	global_load_dwordx2 v[62:63], v[67:68], off offset:2520
	ds_write2_b64 v58, v[80:81], v[78:79] offset0:97 offset1:142
	ds_read2_b64 v[58:61], v57 offset0:59 offset1:104
	s_waitcnt vmcnt(0) lgkmcnt(0)
	v_mul_f32_e32 v78, v59, v63
	v_mul_f32_e32 v79, v58, v63
	v_fma_f32 v78, v58, v62, -v78
	v_fmac_f32_e32 v79, v59, v62
	global_load_dwordx2 v[58:59], v[67:68], off offset:2880
	s_waitcnt vmcnt(0)
	v_mul_f32_e32 v62, v61, v59
	v_mul_f32_e32 v63, v60, v59
	v_fma_f32 v62, v60, v58, -v62
	v_fmac_f32_e32 v63, v61, v58
	ds_write2_b64 v57, v[78:79], v[62:63] offset0:59 offset1:104
	global_load_dwordx2 v[62:63], v[67:68], off offset:3240
	ds_read2_b64 v[58:61], v57 offset0:149 offset1:194
	s_waitcnt vmcnt(0) lgkmcnt(0)
	v_mul_f32_e32 v78, v59, v63
	v_mul_f32_e32 v79, v58, v63
	v_fma_f32 v78, v58, v62, -v78
	v_fmac_f32_e32 v79, v59, v62
	global_load_dwordx2 v[58:59], v[67:68], off offset:3600
	s_waitcnt vmcnt(0)
	v_mul_f32_e32 v62, v61, v59
	v_mul_f32_e32 v63, v60, v59
	v_fma_f32 v62, v60, v58, -v62
	v_fmac_f32_e32 v63, v61, v58
	ds_write2_b64 v57, v[78:79], v[62:63] offset0:149 offset1:194
	global_load_dwordx2 v[61:62], v[67:68], off offset:3960
	ds_read2_b64 v[57:60], v56 offset0:111 offset1:156
	s_waitcnt vmcnt(0) lgkmcnt(0)
	v_mul_f32_e32 v63, v58, v62
	v_fma_f32 v67, v57, v61, -v63
	v_mul_f32_e32 v68, v57, v62
	v_add_co_u32_e32 v57, vcc, 0x2000, v82
	v_fmac_f32_e32 v68, v58, v61
	v_addc_co_u32_e32 v58, vcc, 0, v83, vcc
	global_load_dwordx2 v[57:58], v[57:58], off offset:808
	s_waitcnt vmcnt(0)
	v_mul_f32_e32 v61, v60, v58
	v_mul_f32_e32 v62, v59, v58
	v_fma_f32 v61, v59, v57, -v61
	v_fmac_f32_e32 v62, v60, v57
	ds_write2_b64 v56, v[67:68], v[61:62] offset0:111 offset1:156
.LBB0_13:
	s_or_b64 exec, exec, s[12:13]
	s_waitcnt lgkmcnt(0)
	s_barrier
	s_and_saveexec_b64 s[12:13], s[0:1]
	s_cbranch_execz .LBB0_15
; %bb.14:
	v_add_u32_e32 v44, 0x400, v76
	v_add_u32_e32 v45, 0x800, v76
	;; [unrolled: 1-line block ×3, first 2 shown]
	ds_read_b64 v[65:66], v76
	ds_read2_b64 v[40:43], v76 offset0:45 offset1:90
	ds_read2_b64 v[48:51], v76 offset0:135 offset1:180
	;; [unrolled: 1-line block ×6, first 2 shown]
.LBB0_15:
	s_or_b64 exec, exec, s[12:13]
	s_waitcnt lgkmcnt(2)
	v_sub_f32_e32 v86, v41, v3
	v_add_f32_e32 v78, v2, v40
	v_add_f32_e32 v88, v3, v41
	s_mov_b32 s14, 0xbeb58ec6
	v_mul_f32_e32 v98, 0xbf6f5d39, v86
	v_sub_f32_e32 v90, v43, v1
	v_mul_f32_e32 v100, 0xbeb58ec6, v88
	v_fma_f32 v56, v78, s14, -v98
	s_mov_b32 s15, 0xbf3f9e67
	v_add_f32_e32 v80, v0, v42
	v_add_f32_e32 v92, v1, v43
	v_mul_f32_e32 v102, 0x3f29c268, v90
	v_sub_f32_e32 v79, v40, v2
	v_add_f32_e32 v56, v65, v56
	v_mov_b32_e32 v57, v100
	v_mul_f32_e32 v104, 0xbf3f9e67, v92
	v_fma_f32 v82, v80, s15, -v102
	v_fmac_f32_e32 v57, 0xbf6f5d39, v79
	v_sub_f32_e32 v81, v42, v0
	v_add_f32_e32 v56, v82, v56
	v_mov_b32_e32 v82, v104
	v_add_f32_e32 v57, v66, v57
	v_mul_f32_e32 v58, 0xbf29c268, v86
	v_fmac_f32_e32 v82, 0x3f29c268, v81
	v_mov_b32_e32 v59, v58
	v_add_f32_e32 v57, v82, v57
	v_mul_f32_e32 v82, 0x3f7e222b, v90
	v_fmac_f32_e32 v59, 0xbf3f9e67, v78
	v_mov_b32_e32 v83, v82
	v_add_f32_e32 v59, v65, v59
	v_mul_f32_e32 v60, 0xbf3f9e67, v88
	v_fma_f32 v58, v78, s15, -v58
	s_mov_b32 s17, 0x3df6dbef
	v_fmac_f32_e32 v83, 0x3df6dbef, v80
	v_mov_b32_e32 v61, v60
	v_add_f32_e32 v58, v65, v58
	v_fmac_f32_e32 v60, 0xbf29c268, v79
	v_mul_f32_e32 v62, 0xbe750f2a, v86
	v_add_f32_e32 v59, v83, v59
	v_mul_f32_e32 v83, 0x3df6dbef, v92
	v_fma_f32 v82, v80, s17, -v82
	v_add_f32_e32 v60, v66, v60
	v_mov_b32_e32 v63, v62
	v_mov_b32_e32 v84, v83
	v_add_f32_e32 v58, v82, v58
	v_fmac_f32_e32 v83, 0x3f7e222b, v81
	v_mul_f32_e32 v82, 0x3eedf032, v90
	v_fmac_f32_e32 v63, 0xbf788fa5, v78
	v_add_f32_e32 v60, v83, v60
	v_mov_b32_e32 v83, v82
	v_fmac_f32_e32 v61, 0x3f29c268, v79
	s_mov_b32 s16, 0xbf788fa5
	v_add_f32_e32 v63, v65, v63
	v_mul_f32_e32 v67, 0xbf788fa5, v88
	v_fmac_f32_e32 v83, 0x3f62ad3f, v80
	v_add_f32_e32 v61, v66, v61
	v_mov_b32_e32 v68, v67
	v_fma_f32 v62, v78, s16, -v62
	v_fmac_f32_e32 v84, 0xbf7e222b, v81
	s_mov_b32 s18, 0x3f62ad3f
	v_add_f32_e32 v63, v83, v63
	v_mul_f32_e32 v83, 0x3f62ad3f, v92
	v_fmac_f32_e32 v68, 0x3e750f2a, v79
	v_add_f32_e32 v62, v65, v62
	v_add_f32_e32 v61, v84, v61
	v_mov_b32_e32 v84, v83
	v_fma_f32 v82, v80, s18, -v82
	v_sub_f32_e32 v94, v49, v39
	v_add_f32_e32 v68, v66, v68
	v_fmac_f32_e32 v67, 0xbe750f2a, v79
	v_fmac_f32_e32 v84, 0xbeedf032, v81
	v_add_f32_e32 v62, v82, v62
	v_add_f32_e32 v82, v38, v48
	;; [unrolled: 1-line block ×3, first 2 shown]
	v_mul_f32_e32 v106, 0x3eedf032, v94
	v_add_f32_e32 v67, v66, v67
	v_add_f32_e32 v68, v84, v68
	v_fmac_f32_e32 v83, 0x3eedf032, v81
	v_mul_f32_e32 v107, 0x3f62ad3f, v95
	v_fma_f32 v84, v82, s18, -v106
	v_add_f32_e32 v67, v83, v67
	v_sub_f32_e32 v83, v48, v38
	v_add_f32_e32 v56, v84, v56
	v_mov_b32_e32 v84, v107
	v_fmac_f32_e32 v84, 0x3eedf032, v83
	v_add_f32_e32 v57, v84, v57
	v_mul_f32_e32 v84, 0xbf52af12, v94
	v_mov_b32_e32 v85, v84
	s_mov_b32 s19, 0x3f116cb1
	v_fmac_f32_e32 v85, 0x3f116cb1, v82
	v_add_f32_e32 v59, v85, v59
	v_mul_f32_e32 v85, 0x3f116cb1, v95
	v_fma_f32 v84, v82, s19, -v84
	v_mov_b32_e32 v87, v85
	v_add_f32_e32 v58, v84, v58
	v_fmac_f32_e32 v85, 0xbf52af12, v83
	v_mul_f32_e32 v84, 0xbf29c268, v94
	v_add_f32_e32 v60, v85, v60
	v_mov_b32_e32 v85, v84
	v_fmac_f32_e32 v85, 0xbf3f9e67, v82
	v_fmac_f32_e32 v87, 0x3f52af12, v83
	v_add_f32_e32 v63, v85, v63
	v_mul_f32_e32 v85, 0xbf3f9e67, v95
	v_add_f32_e32 v61, v87, v61
	v_mov_b32_e32 v87, v85
	v_fma_f32 v84, v82, s15, -v84
	v_sub_f32_e32 v96, v51, v37
	v_fmac_f32_e32 v87, 0x3f29c268, v83
	v_add_f32_e32 v62, v84, v62
	v_add_f32_e32 v84, v36, v50
	;; [unrolled: 1-line block ×3, first 2 shown]
	v_mul_f32_e32 v108, 0xbf7e222b, v96
	v_add_f32_e32 v68, v87, v68
	v_fmac_f32_e32 v85, 0xbf29c268, v83
	v_mul_f32_e32 v109, 0x3df6dbef, v97
	v_fma_f32 v87, v84, s17, -v108
	v_add_f32_e32 v67, v85, v67
	v_sub_f32_e32 v85, v50, v36
	v_add_f32_e32 v56, v87, v56
	v_mov_b32_e32 v87, v109
	v_fmac_f32_e32 v87, 0xbf7e222b, v85
	v_add_f32_e32 v57, v87, v57
	v_mul_f32_e32 v87, 0x3e750f2a, v96
	v_mov_b32_e32 v89, v87
	v_fmac_f32_e32 v89, 0xbf788fa5, v84
	v_add_f32_e32 v59, v89, v59
	v_mul_f32_e32 v89, 0xbf788fa5, v97
	v_fma_f32 v87, v84, s16, -v87
	v_mov_b32_e32 v91, v89
	v_add_f32_e32 v58, v87, v58
	v_fmac_f32_e32 v89, 0x3e750f2a, v85
	v_mul_f32_e32 v87, 0x3f52af12, v96
	v_add_f32_e32 v60, v89, v60
	v_mov_b32_e32 v89, v87
	v_fmac_f32_e32 v89, 0x3f116cb1, v84
	v_fmac_f32_e32 v91, 0xbe750f2a, v85
	v_add_f32_e32 v63, v89, v63
	v_mul_f32_e32 v89, 0x3f116cb1, v97
	v_add_f32_e32 v61, v91, v61
	v_mov_b32_e32 v91, v89
	v_fma_f32 v87, v84, s19, -v87
	s_waitcnt lgkmcnt(0)
	v_sub_f32_e32 v99, v53, v47
	v_fmac_f32_e32 v91, 0xbf52af12, v85
	v_add_f32_e32 v62, v87, v62
	v_add_f32_e32 v87, v46, v52
	;; [unrolled: 1-line block ×3, first 2 shown]
	v_mul_f32_e32 v110, 0x3e750f2a, v99
	v_add_f32_e32 v68, v91, v68
	v_fmac_f32_e32 v89, 0x3f52af12, v85
	v_mul_f32_e32 v111, 0xbf788fa5, v101
	v_fma_f32 v91, v87, s16, -v110
	v_add_f32_e32 v67, v89, v67
	v_sub_f32_e32 v89, v52, v46
	v_add_f32_e32 v56, v91, v56
	v_mov_b32_e32 v91, v111
	v_fmac_f32_e32 v91, 0x3e750f2a, v89
	v_add_f32_e32 v57, v91, v57
	v_mul_f32_e32 v91, 0x3eedf032, v99
	v_mov_b32_e32 v93, v91
	v_fmac_f32_e32 v93, 0x3f62ad3f, v87
	v_add_f32_e32 v114, v93, v59
	v_mul_f32_e32 v59, 0x3f62ad3f, v101
	v_fma_f32 v91, v87, s18, -v91
	v_mov_b32_e32 v93, v59
	v_add_f32_e32 v115, v91, v58
	v_fmac_f32_e32 v59, 0x3eedf032, v89
	v_mul_f32_e32 v58, 0xbf6f5d39, v99
	v_add_f32_e32 v60, v59, v60
	v_mov_b32_e32 v59, v58
	v_fmac_f32_e32 v59, 0xbeb58ec6, v87
	v_add_f32_e32 v63, v59, v63
	v_mul_f32_e32 v59, 0xbeb58ec6, v101
	v_mov_b32_e32 v91, v59
	v_fmac_f32_e32 v91, 0x3f6f5d39, v89
	v_sub_f32_e32 v103, v55, v45
	v_add_f32_e32 v116, v91, v68
	v_fma_f32 v58, v87, s14, -v58
	v_add_f32_e32 v91, v44, v54
	v_add_f32_e32 v105, v45, v55
	v_mul_f32_e32 v112, 0x3f52af12, v103
	v_fmac_f32_e32 v93, 0xbeedf032, v89
	v_add_f32_e32 v62, v58, v62
	v_mul_f32_e32 v113, 0x3f116cb1, v105
	v_fma_f32 v58, v91, s19, -v112
	v_add_f32_e32 v61, v93, v61
	v_sub_f32_e32 v93, v54, v44
	v_add_f32_e32 v58, v58, v56
	v_mov_b32_e32 v56, v113
	v_fmac_f32_e32 v59, 0xbf6f5d39, v89
	v_fmac_f32_e32 v56, 0x3f52af12, v93
	v_add_f32_e32 v117, v59, v67
	v_add_f32_e32 v59, v56, v57
	v_mul_f32_e32 v56, 0xbf6f5d39, v103
	v_mov_b32_e32 v57, v56
	v_fmac_f32_e32 v57, 0xbeb58ec6, v91
	v_add_f32_e32 v67, v57, v114
	v_mul_f32_e32 v57, 0xbeb58ec6, v105
	v_mov_b32_e32 v68, v57
	v_fmac_f32_e32 v57, 0xbf6f5d39, v93
	v_mul_f32_e32 v114, 0x3f7e222b, v103
	v_add_f32_e32 v57, v57, v60
	v_mov_b32_e32 v60, v114
	v_fmac_f32_e32 v60, 0x3df6dbef, v91
	v_fmac_f32_e32 v68, 0x3f6f5d39, v93
	v_add_f32_e32 v60, v60, v63
	v_mul_f32_e32 v63, 0x3df6dbef, v105
	v_add_f32_e32 v68, v68, v61
	v_mov_b32_e32 v61, v63
	v_fma_f32 v56, v91, s14, -v56
	v_fmac_f32_e32 v61, 0xbf7e222b, v93
	v_fma_f32 v114, v91, s17, -v114
	v_fmac_f32_e32 v63, 0x3f7e222b, v93
	v_add_f32_e32 v56, v56, v115
	v_add_f32_e32 v61, v61, v116
	;; [unrolled: 1-line block ×4, first 2 shown]
	s_barrier
	s_and_saveexec_b64 s[12:13], s[0:1]
	s_cbranch_execz .LBB0_17
; %bb.16:
	v_mul_f32_e32 v115, 0xbf6f5d39, v79
	v_mul_f32_e32 v117, 0x3f29c268, v81
	v_sub_f32_e32 v100, v100, v115
	v_mul_f32_e32 v119, 0x3eedf032, v83
	v_add_f32_e32 v100, v66, v100
	v_sub_f32_e32 v104, v104, v117
	v_mul_f32_e32 v121, 0xbf7e222b, v85
	v_add_f32_e32 v100, v104, v100
	;; [unrolled: 3-line block ×3, first 2 shown]
	v_sub_f32_e32 v104, v109, v121
	v_mul_f32_e32 v114, 0xbeb58ec6, v78
	v_mul_f32_e32 v125, 0x3f52af12, v93
	v_add_f32_e32 v100, v104, v100
	v_sub_f32_e32 v104, v111, v123
	v_mul_f32_e32 v116, 0xbf3f9e67, v80
	v_add_f32_e32 v100, v104, v100
	v_sub_f32_e32 v104, v113, v125
	v_add_f32_e32 v98, v114, v98
	v_mul_f32_e32 v118, 0x3f62ad3f, v82
	v_add_f32_e32 v107, v104, v100
	v_add_f32_e32 v98, v65, v98
	;; [unrolled: 1-line block ×3, first 2 shown]
	v_mul_f32_e32 v120, 0x3df6dbef, v84
	v_add_f32_e32 v98, v100, v98
	v_add_f32_e32 v100, v118, v106
	v_mul_f32_e32 v122, 0xbf788fa5, v87
	v_add_f32_e32 v98, v100, v98
	v_add_f32_e32 v100, v120, v108
	;; [unrolled: 3-line block ×3, first 2 shown]
	v_add_f32_e32 v98, v100, v98
	v_add_f32_e32 v100, v124, v112
	;; [unrolled: 1-line block ×3, first 2 shown]
	v_mul_f32_e32 v98, 0x3df6dbef, v88
	v_mov_b32_e32 v100, v98
	v_mul_f32_e32 v102, 0xbf788fa5, v92
	v_fmac_f32_e32 v100, 0x3f7e222b, v79
	v_mov_b32_e32 v104, v102
	v_add_f32_e32 v100, v66, v100
	v_fmac_f32_e32 v104, 0x3e750f2a, v81
	v_add_f32_e32 v100, v104, v100
	v_mul_f32_e32 v104, 0xbeb58ec6, v95
	v_mov_b32_e32 v108, v104
	v_fmac_f32_e32 v108, 0xbf6f5d39, v83
	v_mul_f32_e32 v112, 0x3f62ad3f, v97
	v_add_f32_e32 v100, v108, v100
	v_mov_b32_e32 v108, v112
	v_fmac_f32_e32 v108, 0xbeedf032, v85
	v_mul_f32_e32 v113, 0x3f116cb1, v101
	v_add_f32_e32 v100, v108, v100
	v_mov_b32_e32 v108, v113
	v_fmac_f32_e32 v108, 0x3f52af12, v89
	v_mul_f32_e32 v114, 0xbf3f9e67, v105
	v_add_f32_e32 v100, v108, v100
	v_mov_b32_e32 v108, v114
	v_fmac_f32_e32 v108, 0x3f29c268, v93
	v_add_f32_e32 v109, v108, v100
	v_mul_f32_e32 v100, 0xbf7e222b, v86
	v_mov_b32_e32 v108, v100
	v_mul_f32_e32 v115, 0xbe750f2a, v90
	v_fmac_f32_e32 v108, 0x3df6dbef, v78
	v_mov_b32_e32 v110, v115
	v_add_f32_e32 v108, v65, v108
	v_fmac_f32_e32 v110, 0xbf788fa5, v80
	v_mul_f32_e32 v116, 0x3f6f5d39, v94
	v_add_f32_e32 v108, v110, v108
	v_mov_b32_e32 v110, v116
	v_fmac_f32_e32 v110, 0xbeb58ec6, v82
	v_mul_f32_e32 v117, 0x3eedf032, v96
	v_add_f32_e32 v108, v110, v108
	v_mov_b32_e32 v110, v117
	v_fmac_f32_e32 v110, 0x3f62ad3f, v84
	v_mul_f32_e32 v118, 0xbf52af12, v99
	v_add_f32_e32 v41, v41, v66
	v_add_f32_e32 v108, v110, v108
	v_mov_b32_e32 v110, v118
	v_add_f32_e32 v41, v43, v41
	v_fmac_f32_e32 v110, 0x3f116cb1, v87
	v_mul_f32_e32 v119, 0xbf29c268, v103
	v_add_f32_e32 v41, v49, v41
	v_add_f32_e32 v108, v110, v108
	v_mov_b32_e32 v110, v119
	v_add_f32_e32 v41, v51, v41
	v_fmac_f32_e32 v110, 0xbf3f9e67, v91
	v_mul_f32_e32 v120, 0x3f116cb1, v88
	v_add_f32_e32 v41, v53, v41
	v_add_f32_e32 v108, v110, v108
	v_mov_b32_e32 v110, v120
	v_mul_f32_e32 v121, 0xbeb58ec6, v92
	v_add_f32_e32 v41, v55, v41
	v_fmac_f32_e32 v110, 0x3f52af12, v79
	v_mov_b32_e32 v111, v121
	v_add_f32_e32 v41, v45, v41
	v_add_f32_e32 v110, v66, v110
	v_fmac_f32_e32 v111, 0x3f6f5d39, v81
	v_mul_f32_e32 v122, 0xbf788fa5, v95
	v_add_f32_e32 v41, v47, v41
	v_add_f32_e32 v110, v111, v110
	v_mov_b32_e32 v111, v122
	v_add_f32_e32 v37, v37, v41
	v_fmac_f32_e32 v111, 0x3e750f2a, v83
	v_mul_f32_e32 v123, 0xbf3f9e67, v97
	v_add_f32_e32 v37, v39, v37
	v_add_f32_e32 v110, v111, v110
	v_mov_b32_e32 v111, v123
	v_add_f32_e32 v1, v1, v37
	v_fmac_f32_e32 v111, 0xbf29c268, v85
	v_mul_f32_e32 v124, 0x3df6dbef, v101
	v_add_f32_e32 v1, v3, v1
	v_add_f32_e32 v3, v40, v65
	;; [unrolled: 1-line block ×3, first 2 shown]
	v_mov_b32_e32 v111, v124
	v_add_f32_e32 v3, v42, v3
	v_fmac_f32_e32 v111, 0xbf7e222b, v89
	v_mul_f32_e32 v125, 0x3f62ad3f, v105
	v_add_f32_e32 v3, v48, v3
	v_add_f32_e32 v110, v111, v110
	v_mov_b32_e32 v111, v125
	v_add_f32_e32 v3, v50, v3
	v_fmac_f32_e32 v111, 0xbeedf032, v93
	v_mul_f32_e32 v126, 0xbf52af12, v86
	v_add_f32_e32 v3, v52, v3
	v_add_f32_e32 v111, v111, v110
	v_mov_b32_e32 v110, v126
	v_mul_f32_e32 v127, 0xbf6f5d39, v90
	v_add_f32_e32 v3, v54, v3
	v_fmac_f32_e32 v110, 0x3f116cb1, v78
	v_mov_b32_e32 v128, v127
	v_add_f32_e32 v3, v44, v3
	v_add_f32_e32 v110, v65, v110
	v_fmac_f32_e32 v128, 0xbeb58ec6, v80
	v_add_f32_e32 v3, v46, v3
	v_add_f32_e32 v110, v128, v110
	v_mul_f32_e32 v128, 0xbe750f2a, v94
	v_add_f32_e32 v3, v36, v3
	v_mov_b32_e32 v129, v128
	v_add_f32_e32 v3, v38, v3
	v_fmac_f32_e32 v129, 0xbf788fa5, v82
	v_add_f32_e32 v0, v0, v3
	v_fmac_f32_e32 v98, 0xbf7e222b, v79
	v_add_f32_e32 v110, v129, v110
	v_mul_f32_e32 v129, 0x3f29c268, v96
	v_add_f32_e32 v0, v2, v0
	v_add_f32_e32 v2, v66, v98
	v_fmac_f32_e32 v102, 0xbe750f2a, v81
	v_mov_b32_e32 v130, v129
	v_add_f32_e32 v2, v102, v2
	v_fmac_f32_e32 v104, 0x3f6f5d39, v83
	v_fmac_f32_e32 v130, 0xbf3f9e67, v84
	v_add_f32_e32 v2, v104, v2
	v_fmac_f32_e32 v112, 0x3eedf032, v85
	v_add_f32_e32 v110, v130, v110
	v_mul_f32_e32 v130, 0x3f7e222b, v99
	v_add_f32_e32 v2, v112, v2
	v_fmac_f32_e32 v113, 0xbf52af12, v89
	v_mov_b32_e32 v131, v130
	v_add_f32_e32 v2, v113, v2
	v_fmac_f32_e32 v114, 0xbf29c268, v93
	v_fmac_f32_e32 v131, 0x3df6dbef, v87
	v_add_f32_e32 v3, v114, v2
	v_fma_f32 v2, v78, s17, -v100
	v_add_f32_e32 v110, v131, v110
	v_mul_f32_e32 v131, 0x3eedf032, v103
	v_add_f32_e32 v2, v65, v2
	v_fma_f32 v36, v80, s16, -v115
	v_mov_b32_e32 v132, v131
	v_add_f32_e32 v2, v36, v2
	v_fma_f32 v36, v82, s14, -v116
	v_fmac_f32_e32 v132, 0x3f62ad3f, v91
	v_mul_f32_e32 v88, 0x3f62ad3f, v88
	v_add_f32_e32 v2, v36, v2
	v_fma_f32 v36, v84, s18, -v117
	v_add_f32_e32 v110, v132, v110
	v_mov_b32_e32 v132, v88
	v_mul_f32_e32 v92, 0x3f116cb1, v92
	v_add_f32_e32 v2, v36, v2
	v_fma_f32 v36, v87, s19, -v118
	v_fmac_f32_e32 v132, 0x3eedf032, v79
	v_mov_b32_e32 v133, v92
	v_add_f32_e32 v2, v36, v2
	v_fma_f32 v36, v91, s15, -v119
	v_fmac_f32_e32 v120, 0xbf52af12, v79
	v_add_f32_e32 v132, v66, v132
	v_fmac_f32_e32 v133, 0x3f52af12, v81
	v_add_f32_e32 v2, v36, v2
	v_add_f32_e32 v36, v66, v120
	v_fmac_f32_e32 v121, 0xbf6f5d39, v81
	v_add_f32_e32 v132, v133, v132
	v_mul_f32_e32 v133, 0x3df6dbef, v95
	v_add_f32_e32 v36, v121, v36
	v_fmac_f32_e32 v122, 0xbe750f2a, v83
	v_mov_b32_e32 v95, v133
	v_add_f32_e32 v36, v122, v36
	v_fmac_f32_e32 v123, 0x3f29c268, v85
	v_fmac_f32_e32 v95, 0x3f7e222b, v83
	v_mul_f32_e32 v97, 0xbeb58ec6, v97
	v_add_f32_e32 v36, v123, v36
	v_fmac_f32_e32 v124, 0x3f7e222b, v89
	v_add_f32_e32 v95, v95, v132
	v_mov_b32_e32 v132, v97
	v_add_f32_e32 v36, v124, v36
	v_fmac_f32_e32 v125, 0x3eedf032, v93
	v_fmac_f32_e32 v132, 0x3f6f5d39, v85
	v_mul_f32_e32 v101, 0xbf3f9e67, v101
	v_add_f32_e32 v37, v125, v36
	v_fma_f32 v36, v78, s19, -v126
	v_add_f32_e32 v95, v132, v95
	v_mov_b32_e32 v132, v101
	v_add_f32_e32 v36, v65, v36
	v_fma_f32 v38, v80, s14, -v127
	v_fmac_f32_e32 v132, 0x3f29c268, v89
	v_mul_f32_e32 v105, 0xbf788fa5, v105
	v_add_f32_e32 v36, v38, v36
	v_fma_f32 v38, v82, s16, -v128
	v_add_f32_e32 v95, v132, v95
	v_mov_b32_e32 v132, v105
	v_add_f32_e32 v36, v38, v36
	v_fma_f32 v38, v84, s15, -v129
	v_fmac_f32_e32 v132, 0x3e750f2a, v93
	v_mul_f32_e32 v86, 0xbeedf032, v86
	v_add_f32_e32 v36, v38, v36
	v_fma_f32 v38, v87, s17, -v130
	v_add_f32_e32 v95, v132, v95
	v_mov_b32_e32 v132, v86
	v_mul_f32_e32 v90, 0xbf52af12, v90
	v_add_f32_e32 v36, v38, v36
	v_fma_f32 v38, v91, s18, -v131
	v_fmac_f32_e32 v88, 0xbeedf032, v79
	v_fmac_f32_e32 v132, 0x3f62ad3f, v78
	v_mov_b32_e32 v134, v90
	v_add_f32_e32 v36, v38, v36
	v_add_f32_e32 v38, v66, v88
	v_fmac_f32_e32 v92, 0xbf52af12, v81
	v_add_f32_e32 v132, v65, v132
	v_fmac_f32_e32 v134, 0x3f116cb1, v80
	;; [unrolled: 2-line block ×3, first 2 shown]
	v_add_f32_e32 v132, v134, v132
	v_mul_f32_e32 v134, 0xbf7e222b, v94
	v_add_f32_e32 v38, v133, v38
	v_fmac_f32_e32 v97, 0xbf6f5d39, v85
	v_mov_b32_e32 v94, v134
	v_add_f32_e32 v38, v97, v38
	v_fmac_f32_e32 v101, 0xbf29c268, v89
	v_fmac_f32_e32 v94, 0x3df6dbef, v82
	v_mul_f32_e32 v96, 0xbf6f5d39, v96
	v_add_f32_e32 v38, v101, v38
	v_fmac_f32_e32 v105, 0xbe750f2a, v93
	v_add_f32_e32 v94, v94, v132
	v_mov_b32_e32 v132, v96
	v_add_f32_e32 v39, v105, v38
	v_fma_f32 v38, v78, s18, -v86
	v_fmac_f32_e32 v132, 0xbeb58ec6, v84
	v_mul_f32_e32 v99, 0xbf29c268, v99
	v_add_f32_e32 v38, v65, v38
	v_fma_f32 v40, v80, s19, -v90
	v_add_f32_e32 v94, v132, v94
	v_mov_b32_e32 v132, v99
	v_add_f32_e32 v38, v40, v38
	v_fma_f32 v40, v82, s17, -v134
	v_fmac_f32_e32 v132, 0xbf3f9e67, v87
	v_mul_f32_e32 v103, 0xbe750f2a, v103
	v_add_f32_e32 v38, v40, v38
	v_fma_f32 v40, v84, s14, -v96
	v_add_f32_e32 v94, v132, v94
	v_mov_b32_e32 v132, v103
	v_add_f32_e32 v38, v40, v38
	v_fma_f32 v40, v87, s15, -v99
	v_fmac_f32_e32 v132, 0xbf788fa5, v91
	v_add_f32_e32 v38, v40, v38
	v_fma_f32 v40, v91, s16, -v103
	v_add_f32_e32 v94, v132, v94
	v_add_f32_e32 v38, v40, v38
	v_lshl_add_u32 v40, v73, 3, v71
	ds_write2_b64 v40, v[0:1], v[94:95] offset1:1
	ds_write2_b64 v40, v[110:111], v[108:109] offset0:2 offset1:3
	ds_write2_b64 v40, v[106:107], v[67:68] offset0:4 offset1:5
	;; [unrolled: 1-line block ×5, first 2 shown]
	ds_write_b64 v40, v[38:39] offset:96
.LBB0_17:
	s_or_b64 exec, exec, s[12:13]
	v_add_u32_e32 v42, 0x400, v72
	s_waitcnt lgkmcnt(0)
	s_barrier
	ds_read2_b64 v[0:3], v72 offset1:117
	ds_read2_b64 v[36:39], v42 offset0:106 offset1:223
	ds_read_b64 v[40:41], v72 offset:3744
	s_and_saveexec_b64 s[12:13], s[2:3]
	s_cbranch_execz .LBB0_19
; %bb.18:
	ds_read_b64 v[67:68], v72 offset:520
	ds_read2_b64 v[60:63], v42 offset0:54 offset1:171
	v_add_u32_e32 v42, 0xc00, v72
	ds_read2_b64 v[56:59], v42 offset0:32 offset1:149
.LBB0_19:
	s_or_b64 exec, exec, s[12:13]
	s_waitcnt lgkmcnt(2)
	v_mul_f32_e32 v42, v17, v3
	v_fmac_f32_e32 v42, v16, v2
	v_mul_f32_e32 v2, v17, v2
	v_fma_f32 v43, v16, v3, -v2
	s_waitcnt lgkmcnt(1)
	v_mul_f32_e32 v17, v19, v37
	v_mul_f32_e32 v2, v19, v36
	v_mul_f32_e32 v19, v13, v39
	v_fmac_f32_e32 v17, v18, v36
	v_fma_f32 v18, v18, v37, -v2
	v_fmac_f32_e32 v19, v12, v38
	v_mul_f32_e32 v2, v13, v38
	v_fma_f32 v36, v12, v39, -v2
	s_waitcnt lgkmcnt(0)
	v_mul_f32_e32 v2, v15, v40
	v_add_f32_e32 v3, v17, v19
	v_mul_f32_e32 v37, v15, v41
	v_fma_f32 v38, v14, v41, -v2
	v_fma_f32 v12, -0.5, v3, v0
	v_fmac_f32_e32 v37, v14, v40
	v_sub_f32_e32 v3, v43, v38
	v_mov_b32_e32 v14, v12
	v_fmac_f32_e32 v14, 0xbf737871, v3
	v_sub_f32_e32 v13, v18, v36
	v_sub_f32_e32 v15, v42, v17
	;; [unrolled: 1-line block ×3, first 2 shown]
	v_fmac_f32_e32 v12, 0x3f737871, v3
	v_fmac_f32_e32 v14, 0xbf167918, v13
	v_add_f32_e32 v15, v15, v16
	v_fmac_f32_e32 v12, 0x3f167918, v13
	v_fmac_f32_e32 v14, 0x3e9e377a, v15
	;; [unrolled: 1-line block ×3, first 2 shown]
	v_add_f32_e32 v15, v42, v37
	v_add_f32_e32 v2, v0, v42
	v_fma_f32 v0, -0.5, v15, v0
	v_mov_b32_e32 v16, v0
	v_add_f32_e32 v2, v2, v17
	v_fmac_f32_e32 v16, 0x3f737871, v13
	v_sub_f32_e32 v15, v17, v42
	v_sub_f32_e32 v39, v19, v37
	v_fmac_f32_e32 v0, 0xbf737871, v13
	v_add_f32_e32 v13, v18, v36
	v_add_f32_e32 v2, v2, v19
	v_fmac_f32_e32 v16, 0xbf167918, v3
	v_add_f32_e32 v15, v15, v39
	v_fmac_f32_e32 v0, 0x3f167918, v3
	v_fma_f32 v13, -0.5, v13, v1
	v_add_f32_e32 v2, v2, v37
	v_fmac_f32_e32 v16, 0x3e9e377a, v15
	v_fmac_f32_e32 v0, 0x3e9e377a, v15
	v_sub_f32_e32 v37, v42, v37
	v_mov_b32_e32 v15, v13
	v_fmac_f32_e32 v15, 0x3f737871, v37
	v_sub_f32_e32 v19, v17, v19
	v_sub_f32_e32 v17, v43, v18
	;; [unrolled: 1-line block ×3, first 2 shown]
	v_fmac_f32_e32 v13, 0xbf737871, v37
	v_fmac_f32_e32 v15, 0x3f167918, v19
	v_add_f32_e32 v17, v17, v39
	v_fmac_f32_e32 v13, 0xbf167918, v19
	v_fmac_f32_e32 v15, 0x3e9e377a, v17
	;; [unrolled: 1-line block ×3, first 2 shown]
	v_add_f32_e32 v17, v43, v38
	v_add_f32_e32 v3, v1, v43
	v_fma_f32 v1, -0.5, v17, v1
	v_add_f32_e32 v3, v3, v18
	v_mov_b32_e32 v17, v1
	v_add_f32_e32 v3, v3, v36
	v_fmac_f32_e32 v17, 0xbf737871, v19
	v_sub_f32_e32 v18, v18, v43
	v_sub_f32_e32 v36, v36, v38
	v_fmac_f32_e32 v1, 0x3f737871, v19
	v_add_f32_e32 v3, v3, v38
	v_fmac_f32_e32 v17, 0x3f167918, v37
	v_add_f32_e32 v18, v18, v36
	v_fmac_f32_e32 v1, 0xbf167918, v37
	v_fmac_f32_e32 v17, 0x3e9e377a, v18
	;; [unrolled: 1-line block ×3, first 2 shown]
	s_barrier
	ds_write2_b64 v77, v[2:3], v[14:15] offset1:13
	ds_write2_b64 v77, v[16:17], v[0:1] offset0:26 offset1:39
	ds_write_b64 v77, v[12:13] offset:416
	s_and_saveexec_b64 s[12:13], s[2:3]
	s_cbranch_execz .LBB0_21
; %bb.20:
	v_mul_f32_e32 v0, v9, v60
	v_mul_f32_e32 v1, v7, v58
	v_fma_f32 v12, v8, v61, -v0
	v_mul_f32_e32 v0, v11, v62
	v_fma_f32 v14, v6, v59, -v1
	v_mul_f32_e32 v1, v5, v56
	v_mul_f32_e32 v11, v11, v63
	v_fma_f32 v13, v10, v63, -v0
	v_fma_f32 v15, v4, v57, -v1
	v_fmac_f32_e32 v11, v10, v62
	v_mul_f32_e32 v10, v5, v57
	v_sub_f32_e32 v0, v12, v13
	v_sub_f32_e32 v1, v14, v15
	v_fmac_f32_e32 v10, v4, v56
	v_mul_f32_e32 v9, v9, v61
	v_add_f32_e32 v4, v12, v68
	v_add_f32_e32 v16, v1, v0
	v_fmac_f32_e32 v9, v8, v60
	v_mul_f32_e32 v8, v7, v59
	v_add_f32_e32 v0, v13, v15
	v_sub_f32_e32 v36, v13, v15
	v_add_f32_e32 v4, v13, v4
	v_sub_f32_e32 v7, v13, v12
	v_sub_f32_e32 v13, v15, v14
	v_add_f32_e32 v13, v13, v7
	v_add_f32_e32 v7, v14, v12
	v_fma_f32 v1, -0.5, v0, v68
	v_add_f32_e32 v4, v15, v4
	v_fmac_f32_e32 v68, -0.5, v7
	v_sub_f32_e32 v17, v11, v10
	v_fmac_f32_e32 v8, v6, v58
	v_add_f32_e32 v5, v14, v4
	v_add_f32_e32 v4, v67, v9
	v_mov_b32_e32 v7, v68
	v_sub_f32_e32 v6, v9, v8
	v_mov_b32_e32 v3, v1
	v_sub_f32_e32 v0, v9, v11
	v_sub_f32_e32 v2, v8, v10
	v_add_f32_e32 v4, v11, v4
	v_fmac_f32_e32 v7, 0x3f737871, v17
	v_fmac_f32_e32 v68, 0xbf737871, v17
	;; [unrolled: 1-line block ×3, first 2 shown]
	v_add_f32_e32 v18, v2, v0
	v_add_f32_e32 v0, v11, v10
	;; [unrolled: 1-line block ×3, first 2 shown]
	v_fmac_f32_e32 v7, 0xbf167918, v6
	v_fmac_f32_e32 v68, 0x3f167918, v6
	;; [unrolled: 1-line block ×3, first 2 shown]
	v_sub_f32_e32 v6, v11, v9
	v_sub_f32_e32 v10, v10, v8
	v_fma_f32 v0, -0.5, v0, v67
	v_add_f32_e32 v10, v10, v6
	v_add_f32_e32 v6, v8, v9
	v_sub_f32_e32 v19, v12, v14
	v_mov_b32_e32 v2, v0
	v_fmac_f32_e32 v67, -0.5, v6
	v_fmac_f32_e32 v2, 0xbf737871, v19
	v_add_f32_e32 v4, v8, v4
	v_mov_b32_e32 v6, v67
	v_mul_u32_u24_e32 v8, 0x41, v74
	v_fmac_f32_e32 v3, 0x3f167918, v17
	v_fmac_f32_e32 v2, 0xbf167918, v36
	;; [unrolled: 1-line block ×5, first 2 shown]
	v_add_u32_sdwa v8, v8, v75 dst_sel:DWORD dst_unused:UNUSED_PAD src0_sel:DWORD src1_sel:BYTE_0
	v_fmac_f32_e32 v3, 0x3e9e377a, v16
	v_fmac_f32_e32 v2, 0x3e9e377a, v18
	;; [unrolled: 1-line block ×6, first 2 shown]
	v_lshl_add_u32 v8, v8, 3, v71
	v_fmac_f32_e32 v7, 0x3e9e377a, v13
	v_fmac_f32_e32 v68, 0x3e9e377a, v13
	v_fmac_f32_e32 v1, 0x3e9e377a, v16
	v_fmac_f32_e32 v6, 0x3e9e377a, v10
	v_fmac_f32_e32 v67, 0x3e9e377a, v10
	v_fmac_f32_e32 v0, 0x3e9e377a, v18
	ds_write2_b64 v8, v[4:5], v[2:3] offset1:13
	ds_write2_b64 v8, v[67:68], v[6:7] offset0:26 offset1:39
	ds_write_b64 v8, v[0:1] offset:416
.LBB0_21:
	s_or_b64 exec, exec, s[12:13]
	s_waitcnt lgkmcnt(0)
	s_barrier
	ds_read_b64 v[16:17], v72
	ds_read2_b64 v[0:3], v72 offset0:65 offset1:130
	v_add_u32_e32 v4, 0x400, v72
	ds_read2_b64 v[4:7], v4 offset0:67 offset1:132
	v_add_u32_e32 v8, 0x800, v72
	ds_read2_b64 v[8:11], v8 offset0:69 offset1:134
	s_waitcnt lgkmcnt(2)
	v_mul_f32_e32 v18, v33, v1
	v_fmac_f32_e32 v18, v32, v0
	v_mul_f32_e32 v0, v33, v0
	v_fma_f32 v0, v32, v1, -v0
	v_mul_f32_e32 v1, v35, v3
	v_add_u32_e32 v12, 0xc00, v72
	v_fmac_f32_e32 v1, v34, v2
	v_mul_f32_e32 v2, v35, v2
	ds_read2_b64 v[12:15], v12 offset0:71 offset1:136
	v_fma_f32 v2, v34, v3, -v2
	s_waitcnt lgkmcnt(2)
	v_mul_f32_e32 v3, v29, v5
	v_fmac_f32_e32 v3, v28, v4
	v_mul_f32_e32 v4, v29, v4
	v_fma_f32 v4, v28, v5, -v4
	v_mul_f32_e32 v5, v31, v6
	v_fma_f32 v28, v30, v7, -v5
	s_waitcnt lgkmcnt(1)
	v_mul_f32_e32 v29, v25, v9
	v_mul_f32_e32 v5, v25, v8
	;; [unrolled: 1-line block ×3, first 2 shown]
	v_fmac_f32_e32 v29, v24, v8
	v_fma_f32 v24, v24, v9, -v5
	v_mul_f32_e32 v5, v27, v11
	v_fmac_f32_e32 v19, v30, v6
	v_fmac_f32_e32 v5, v26, v10
	v_mul_f32_e32 v6, v27, v10
	s_waitcnt lgkmcnt(0)
	v_mul_f32_e32 v9, v23, v15
	v_mul_f32_e32 v10, v23, v14
	;; [unrolled: 1-line block ×4, first 2 shown]
	v_fmac_f32_e32 v9, v22, v14
	v_fma_f32 v10, v22, v15, -v10
	v_fma_f32 v6, v26, v11, -v6
	v_fmac_f32_e32 v7, v20, v12
	v_fma_f32 v8, v20, v13, -v8
	v_sub_f32_e32 v13, v18, v9
	v_sub_f32_e32 v14, v0, v10
	v_add_f32_e32 v15, v18, v9
	v_add_f32_e32 v22, v2, v8
	;; [unrolled: 1-line block ×4, first 2 shown]
	v_sub_f32_e32 v18, v1, v7
	v_sub_f32_e32 v2, v2, v8
	;; [unrolled: 1-line block ×4, first 2 shown]
	v_mul_f32_e32 v4, 0x3f248dbb, v13
	v_mul_f32_e32 v3, 0x3f248dbb, v14
	v_sub_f32_e32 v30, v19, v29
	v_sub_f32_e32 v31, v28, v24
	v_add_f32_e32 v21, v1, v7
	v_fmac_f32_e32 v4, 0x3f7c1c5c, v18
	v_fmac_f32_e32 v3, 0x3f7c1c5c, v2
	v_mul_f32_e32 v8, 0xbf248dbb, v30
	v_mul_f32_e32 v7, 0xbf248dbb, v31
	v_fmac_f32_e32 v4, 0x3f5db3d7, v26
	v_fmac_f32_e32 v3, 0x3f5db3d7, v27
	;; [unrolled: 1-line block ×4, first 2 shown]
	v_add_f32_e32 v20, v0, v10
	v_fmac_f32_e32 v4, 0x3eaf1d44, v30
	v_fmac_f32_e32 v3, 0x3eaf1d44, v31
	s_mov_b32 s2, 0xbf248dbb
	v_fmac_f32_e32 v8, 0xbf5db3d7, v26
	v_fmac_f32_e32 v7, 0xbf5db3d7, v27
	v_add_f32_e32 v9, v30, v13
	v_add_f32_e32 v10, v31, v14
	v_mul_f32_e32 v30, 0x3f7c1c5c, v30
	v_mul_f32_e32 v31, 0x3f7c1c5c, v31
	v_fmac_f32_e32 v8, 0x3eaf1d44, v18
	v_fmac_f32_e32 v7, 0x3eaf1d44, v2
	v_sub_f32_e32 v11, v9, v18
	v_sub_f32_e32 v12, v10, v2
	v_fma_f32 v18, v18, s2, -v30
	v_fma_f32 v2, v2, s2, -v31
	v_add_f32_e32 v36, v21, v15
	v_add_f32_e32 v37, v22, v20
	v_fmac_f32_e32 v18, 0x3f5db3d7, v26
	v_fmac_f32_e32 v2, 0x3f5db3d7, v27
	;; [unrolled: 1-line block ×4, first 2 shown]
	v_add_f32_e32 v13, v23, v36
	v_add_f32_e32 v14, v25, v37
	;; [unrolled: 1-line block ×6, first 2 shown]
	v_mov_b32_e32 v5, v16
	v_mov_b32_e32 v6, v17
	v_add_f32_e32 v13, v29, v13
	v_add_f32_e32 v14, v24, v14
	v_mov_b32_e32 v0, v16
	v_mov_b32_e32 v1, v17
	v_fmac_f32_e32 v5, 0x3f441b7d, v32
	v_fmac_f32_e32 v6, 0x3f441b7d, v33
	v_add_f32_e32 v9, v23, v16
	v_add_f32_e32 v10, v25, v17
	;; [unrolled: 1-line block ×4, first 2 shown]
	v_fmac_f32_e32 v16, 0x3f441b7d, v21
	v_fmac_f32_e32 v17, 0x3f441b7d, v22
	;; [unrolled: 1-line block ×10, first 2 shown]
	v_fmac_f32_e32 v5, -0.5, v23
	v_fmac_f32_e32 v6, -0.5, v25
	;; [unrolled: 1-line block ×6, first 2 shown]
	v_fmac_f32_e32 v5, 0xbf708fb2, v21
	v_fmac_f32_e32 v6, 0xbf708fb2, v22
	v_add_f32_e32 v38, v32, v36
	v_add_f32_e32 v39, v33, v37
	v_fmac_f32_e32 v16, 0xbf708fb2, v15
	v_fmac_f32_e32 v17, 0xbf708fb2, v20
	v_fmac_f32_e32 v0, 0xbf708fb2, v32
	v_fmac_f32_e32 v1, 0xbf708fb2, v33
	v_sub_f32_e32 v5, v5, v7
	v_add_f32_e32 v6, v8, v6
	v_fmac_f32_e32 v9, -0.5, v38
	v_fmac_f32_e32 v10, -0.5, v39
	v_sub_f32_e32 v15, v16, v2
	v_add_f32_e32 v16, v18, v17
	v_sub_f32_e32 v0, v0, v3
	v_add_f32_e32 v1, v4, v1
	v_fma_f32 v7, 2.0, v7, v5
	v_fma_f32 v8, -2.0, v8, v6
	v_mul_f32_e32 v34, 0x3f5db3d7, v11
	v_mul_f32_e32 v35, 0x3f5db3d7, v12
	v_fmac_f32_e32 v9, 0xbf5db3d7, v12
	v_fmac_f32_e32 v10, 0x3f5db3d7, v11
	ds_write_b64 v76, v[13:14]
	ds_write2_b64 v76, v[0:1], v[5:6] offset0:65 offset1:130
	v_mov_b32_e32 v6, v16
	v_mov_b32_e32 v5, v15
	v_fma_f32 v3, 2.0, v3, v0
	v_fma_f32 v4, -2.0, v4, v1
	v_fma_f32 v11, 2.0, v35, v9
	v_fma_f32 v12, -2.0, v34, v10
	v_fmac_f32_e32 v6, -2.0, v18
	v_fmac_f32_e32 v5, 2.0, v2
	v_add_u32_e32 v2, 0x400, v76
	v_add_u32_e32 v1, 0x800, v76
	;; [unrolled: 1-line block ×3, first 2 shown]
	ds_write2_b64 v2, v[9:10], v[15:16] offset0:67 offset1:132
	ds_write2_b64 v1, v[5:6], v[11:12] offset0:69 offset1:134
	;; [unrolled: 1-line block ×3, first 2 shown]
	s_waitcnt lgkmcnt(0)
	s_barrier
	s_and_b64 exec, exec, s[0:1]
	s_cbranch_execz .LBB0_23
; %bb.22:
	global_load_dwordx2 v[11:12], v69, s[8:9]
	global_load_dwordx2 v[13:14], v69, s[8:9] offset:360
	global_load_dwordx2 v[15:16], v69, s[8:9] offset:720
	;; [unrolled: 1-line block ×4, first 2 shown]
	ds_read_b64 v[23:24], v76
	ds_read2_b64 v[3:6], v76 offset0:45 offset1:90
	ds_read2_b64 v[7:10], v76 offset0:135 offset1:180
	global_load_dwordx2 v[27:28], v69, s[8:9] offset:1800
	global_load_dwordx2 v[29:30], v69, s[8:9] offset:2160
	global_load_dwordx2 v[31:32], v69, s[8:9] offset:2520
	v_mad_u64_u32 v[21:22], s[0:1], s6, v64, 0
	v_mad_u64_u32 v[25:26], s[2:3], s4, v70, 0
	v_mov_b32_e32 v33, s9
	s_mul_i32 s3, s5, 0x168
	s_mul_hi_u32 s6, s4, 0x168
	v_add_co_u32_e32 v37, vcc, s8, v69
	v_addc_co_u32_e32 v38, vcc, 0, v33, vcc
	s_add_i32 s3, s6, s3
	s_waitcnt lgkmcnt(2)
	v_mad_u64_u32 v[33:34], s[6:7], s7, v64, v[22:23]
	s_mul_i32 s2, s4, 0x168
	v_mov_b32_e32 v36, s11
	v_mov_b32_e32 v22, v33
	v_lshlrev_b64 v[21:22], 3, v[21:22]
	v_mov_b32_e32 v39, s3
	v_add_co_u32_e32 v21, vcc, s10, v21
	v_addc_co_u32_e32 v22, vcc, v36, v22, vcc
	s_mov_b32 s0, 0x1c01c01c
	s_mov_b32 s1, 0x3f5c01c0
	s_waitcnt vmcnt(6) lgkmcnt(1)
	v_mul_f32_e32 v36, v4, v14
	v_mul_f32_e32 v14, v3, v14
	s_waitcnt vmcnt(4) lgkmcnt(0)
	v_mul_f32_e32 v40, v8, v18
	v_mul_f32_e32 v18, v7, v18
	v_fmac_f32_e32 v36, v3, v13
	s_waitcnt vmcnt(2)
	v_mad_u64_u32 v[34:35], s[4:5], s5, v70, v[26:27]
	v_mov_b32_e32 v35, s3
	v_fmac_f32_e32 v40, v7, v17
	v_mov_b32_e32 v26, v34
	v_lshlrev_b64 v[25:26], 3, v[25:26]
	v_mul_f32_e32 v41, v10, v20
	v_add_co_u32_e32 v21, vcc, v21, v25
	v_addc_co_u32_e32 v22, vcc, v22, v26, vcc
	v_add_co_u32_e32 v25, vcc, s2, v21
	v_addc_co_u32_e32 v26, vcc, v22, v35, vcc
	v_add_co_u32_e32 v33, vcc, s2, v25
	v_mul_f32_e32 v35, v24, v12
	v_mul_f32_e32 v12, v23, v12
	v_addc_co_u32_e32 v34, vcc, v26, v39, vcc
	v_mul_f32_e32 v39, v6, v16
	v_mul_f32_e32 v16, v5, v16
	v_fmac_f32_e32 v35, v23, v11
	v_fma_f32 v11, v11, v24, -v12
	v_fma_f32 v12, v13, v4, -v14
	v_fmac_f32_e32 v39, v5, v15
	v_fma_f32 v15, v15, v6, -v16
	v_cvt_f64_f32_e32 v[3:4], v35
	v_cvt_f64_f32_e32 v[5:6], v11
	v_fma_f32 v23, v17, v8, -v18
	v_cvt_f64_f32_e32 v[7:8], v36
	v_cvt_f64_f32_e32 v[11:12], v12
	;; [unrolled: 1-line block ×4, first 2 shown]
	v_mul_f64 v[3:4], v[3:4], s[0:1]
	v_mul_f64 v[5:6], v[5:6], s[0:1]
	;; [unrolled: 1-line block ×6, first 2 shown]
	global_load_dwordx2 v[35:36], v69, s[8:9] offset:2880
	v_cvt_f64_f32_e32 v[17:18], v40
	v_cvt_f32_f64_e32 v3, v[3:4]
	v_cvt_f32_f64_e32 v4, v[5:6]
	;; [unrolled: 1-line block ×6, first 2 shown]
	global_store_dwordx2 v[21:22], v[3:4], off
	global_store_dwordx2 v[25:26], v[5:6], off
	;; [unrolled: 1-line block ×3, first 2 shown]
	v_cvt_f64_f32_e32 v[23:24], v23
	global_load_dwordx2 v[6:7], v69, s[8:9] offset:3240
	v_fmac_f32_e32 v41, v9, v19
	v_cvt_f64_f32_e32 v[3:4], v41
	v_mul_f64 v[17:18], v[17:18], s[0:1]
	v_mul_f64 v[23:24], v[23:24], s[0:1]
	v_mov_b32_e32 v16, s3
	v_mul_f64 v[13:14], v[3:4], s[0:1]
	v_mul_f32_e32 v3, v9, v20
	v_fma_f32 v3, v19, v10, -v3
	v_cvt_f64_f32_e32 v[8:9], v3
	ds_read2_b64 v[2:5], v2 offset0:97 offset1:142
	v_cvt_f32_f64_e32 v11, v[17:18]
	global_load_dwordx2 v[17:18], v69, s[8:9] offset:3600
	v_cvt_f32_f64_e32 v12, v[23:24]
	v_mul_f64 v[8:9], v[8:9], s[0:1]
	v_add_co_u32_e32 v15, vcc, s2, v33
	v_addc_co_u32_e32 v16, vcc, v34, v16, vcc
	global_store_dwordx2 v[15:16], v[11:12], off
	s_waitcnt lgkmcnt(0)
	v_mul_f32_e32 v11, v3, v28
	v_fmac_f32_e32 v11, v2, v27
	v_cvt_f32_f64_e32 v10, v[13:14]
	v_cvt_f64_f32_e32 v[12:13], v11
	v_cvt_f32_f64_e32 v11, v[8:9]
	v_mul_f32_e32 v2, v2, v28
	v_fma_f32 v2, v27, v3, -v2
	v_mul_f64 v[8:9], v[12:13], s[0:1]
	v_mov_b32_e32 v13, s3
	v_add_co_u32_e32 v12, vcc, s2, v15
	v_addc_co_u32_e32 v13, vcc, v16, v13, vcc
	global_store_dwordx2 v[12:13], v[10:11], off
	global_load_dwordx2 v[10:11], v69, s[8:9] offset:3960
	v_cvt_f64_f32_e32 v[2:3], v2
	v_cvt_f32_f64_e32 v8, v[8:9]
	v_mov_b32_e32 v16, s3
	v_add_co_u32_e32 v12, vcc, s2, v12
	v_mul_f64 v[2:3], v[2:3], s[0:1]
	v_addc_co_u32_e32 v13, vcc, v13, v16, vcc
	s_movk_i32 s4, 0x1000
	v_cvt_f32_f64_e32 v9, v[2:3]
	s_waitcnt vmcnt(10)
	v_mul_f32_e32 v2, v5, v30
	v_fmac_f32_e32 v2, v4, v29
	v_cvt_f64_f32_e32 v[14:15], v2
	v_mul_f32_e32 v2, v4, v30
	v_fma_f32 v2, v29, v5, -v2
	v_cvt_f64_f32_e32 v[19:20], v2
	ds_read2_b64 v[2:5], v1 offset0:59 offset1:104
	global_store_dwordx2 v[12:13], v[8:9], off
	v_mul_f64 v[8:9], v[14:15], s[0:1]
	v_mul_f64 v[14:15], v[19:20], s[0:1]
	v_add_co_u32_e32 v12, vcc, s2, v12
	s_waitcnt vmcnt(10) lgkmcnt(0)
	v_mul_f32_e32 v16, v3, v32
	v_fmac_f32_e32 v16, v2, v31
	v_mul_f32_e32 v2, v2, v32
	v_fma_f32 v2, v31, v3, -v2
	v_cvt_f64_f32_e32 v[2:3], v2
	v_cvt_f64_f32_e32 v[19:20], v16
	v_cvt_f32_f64_e32 v8, v[8:9]
	v_cvt_f32_f64_e32 v9, v[14:15]
	v_mul_f64 v[2:3], v[2:3], s[0:1]
	v_mul_f64 v[14:15], v[19:20], s[0:1]
	v_mov_b32_e32 v16, s3
	v_addc_co_u32_e32 v13, vcc, v13, v16, vcc
	global_store_dwordx2 v[12:13], v[8:9], off
	v_add_co_u32_e32 v12, vcc, s2, v12
	v_cvt_f32_f64_e32 v9, v[2:3]
	s_waitcnt vmcnt(10)
	v_mul_f32_e32 v2, v5, v36
	v_fmac_f32_e32 v2, v4, v35
	v_cvt_f32_f64_e32 v8, v[14:15]
	v_cvt_f64_f32_e32 v[14:15], v2
	v_mul_f32_e32 v2, v4, v36
	v_fma_f32 v2, v35, v5, -v2
	v_cvt_f64_f32_e32 v[19:20], v2
	ds_read2_b64 v[1:4], v1 offset0:149 offset1:194
	v_addc_co_u32_e32 v13, vcc, v13, v16, vcc
	global_store_dwordx2 v[12:13], v[8:9], off
	v_mul_f64 v[8:9], v[14:15], s[0:1]
	s_waitcnt vmcnt(7) lgkmcnt(0)
	v_mul_f32_e32 v5, v2, v7
	v_fmac_f32_e32 v5, v1, v6
	v_mul_f32_e32 v1, v1, v7
	v_fma_f32 v1, v6, v2, -v1
	v_mul_f64 v[14:15], v[19:20], s[0:1]
	v_cvt_f64_f32_e32 v[1:2], v1
	v_cvt_f64_f32_e32 v[19:20], v5
	v_cvt_f32_f64_e32 v5, v[8:9]
	v_mov_b32_e32 v9, s3
	v_mul_f64 v[1:2], v[1:2], s[0:1]
	v_mul_f64 v[7:8], v[19:20], s[0:1]
	v_add_co_u32_e32 v12, vcc, s2, v12
	v_cvt_f32_f64_e32 v6, v[14:15]
	v_addc_co_u32_e32 v13, vcc, v13, v9, vcc
	global_store_dwordx2 v[12:13], v[5:6], off
	v_cvt_f32_f64_e32 v6, v[1:2]
	s_waitcnt vmcnt(7)
	v_mul_f32_e32 v1, v4, v18
	v_fmac_f32_e32 v1, v3, v17
	v_cvt_f32_f64_e32 v5, v[7:8]
	v_cvt_f64_f32_e32 v[7:8], v1
	v_mul_f32_e32 v1, v3, v18
	v_fma_f32 v1, v17, v4, -v1
	v_cvt_f64_f32_e32 v[14:15], v1
	ds_read2_b64 v[0:3], v0 offset0:111 offset1:156
	v_add_co_u32_e32 v12, vcc, s2, v12
	v_addc_co_u32_e32 v13, vcc, v13, v9, vcc
	global_store_dwordx2 v[12:13], v[5:6], off
	v_mul_f64 v[4:5], v[7:8], s[0:1]
	v_mul_f64 v[6:7], v[14:15], s[0:1]
	s_waitcnt vmcnt(5) lgkmcnt(0)
	v_mul_f32_e32 v8, v1, v11
	v_fmac_f32_e32 v8, v0, v10
	v_mul_f32_e32 v0, v0, v11
	v_fma_f32 v0, v10, v1, -v0
	v_cvt_f64_f32_e32 v[8:9], v8
	v_cvt_f64_f32_e32 v[0:1], v0
	v_cvt_f32_f64_e32 v4, v[4:5]
	v_cvt_f32_f64_e32 v5, v[6:7]
	v_mul_f64 v[6:7], v[8:9], s[0:1]
	v_mul_f64 v[0:1], v[0:1], s[0:1]
	v_mov_b32_e32 v9, s3
	v_add_co_u32_e32 v8, vcc, s2, v12
	v_addc_co_u32_e32 v9, vcc, v13, v9, vcc
	global_store_dwordx2 v[8:9], v[4:5], off
	v_cvt_f32_f64_e32 v4, v[6:7]
	v_cvt_f32_f64_e32 v5, v[0:1]
	v_mov_b32_e32 v1, s3
	v_add_co_u32_e32 v0, vcc, s2, v8
	v_addc_co_u32_e32 v1, vcc, v9, v1, vcc
	global_store_dwordx2 v[0:1], v[4:5], off
	v_add_co_u32_e32 v4, vcc, s4, v37
	v_addc_co_u32_e32 v5, vcc, 0, v38, vcc
	global_load_dwordx2 v[4:5], v[4:5], off offset:224
	v_add_co_u32_e32 v0, vcc, s2, v0
	s_waitcnt vmcnt(0)
	v_mul_f32_e32 v6, v3, v5
	v_fmac_f32_e32 v6, v2, v4
	v_mul_f32_e32 v2, v2, v5
	v_fma_f32 v2, v4, v3, -v2
	v_cvt_f64_f32_e32 v[6:7], v6
	v_cvt_f64_f32_e32 v[2:3], v2
	v_mul_f64 v[4:5], v[6:7], s[0:1]
	v_mul_f64 v[2:3], v[2:3], s[0:1]
	v_cvt_f32_f64_e32 v4, v[4:5]
	v_cvt_f32_f64_e32 v5, v[2:3]
	v_mov_b32_e32 v2, s3
	v_addc_co_u32_e32 v1, vcc, v1, v2, vcc
	global_store_dwordx2 v[0:1], v[4:5], off
.LBB0_23:
	s_endpgm
	.section	.rodata,"a",@progbits
	.p2align	6, 0x0
	.amdhsa_kernel bluestein_single_fwd_len585_dim1_sp_op_CI_CI
		.amdhsa_group_segment_fixed_size 14040
		.amdhsa_private_segment_fixed_size 0
		.amdhsa_kernarg_size 104
		.amdhsa_user_sgpr_count 6
		.amdhsa_user_sgpr_private_segment_buffer 1
		.amdhsa_user_sgpr_dispatch_ptr 0
		.amdhsa_user_sgpr_queue_ptr 0
		.amdhsa_user_sgpr_kernarg_segment_ptr 1
		.amdhsa_user_sgpr_dispatch_id 0
		.amdhsa_user_sgpr_flat_scratch_init 0
		.amdhsa_user_sgpr_private_segment_size 0
		.amdhsa_uses_dynamic_stack 0
		.amdhsa_system_sgpr_private_segment_wavefront_offset 0
		.amdhsa_system_sgpr_workgroup_id_x 1
		.amdhsa_system_sgpr_workgroup_id_y 0
		.amdhsa_system_sgpr_workgroup_id_z 0
		.amdhsa_system_sgpr_workgroup_info 0
		.amdhsa_system_vgpr_workitem_id 0
		.amdhsa_next_free_vgpr 135
		.amdhsa_next_free_sgpr 20
		.amdhsa_reserve_vcc 1
		.amdhsa_reserve_flat_scratch 0
		.amdhsa_float_round_mode_32 0
		.amdhsa_float_round_mode_16_64 0
		.amdhsa_float_denorm_mode_32 3
		.amdhsa_float_denorm_mode_16_64 3
		.amdhsa_dx10_clamp 1
		.amdhsa_ieee_mode 1
		.amdhsa_fp16_overflow 0
		.amdhsa_exception_fp_ieee_invalid_op 0
		.amdhsa_exception_fp_denorm_src 0
		.amdhsa_exception_fp_ieee_div_zero 0
		.amdhsa_exception_fp_ieee_overflow 0
		.amdhsa_exception_fp_ieee_underflow 0
		.amdhsa_exception_fp_ieee_inexact 0
		.amdhsa_exception_int_div_zero 0
	.end_amdhsa_kernel
	.text
.Lfunc_end0:
	.size	bluestein_single_fwd_len585_dim1_sp_op_CI_CI, .Lfunc_end0-bluestein_single_fwd_len585_dim1_sp_op_CI_CI
                                        ; -- End function
	.section	.AMDGPU.csdata,"",@progbits
; Kernel info:
; codeLenInByte = 13324
; NumSgprs: 24
; NumVgprs: 135
; ScratchSize: 0
; MemoryBound: 0
; FloatMode: 240
; IeeeMode: 1
; LDSByteSize: 14040 bytes/workgroup (compile time only)
; SGPRBlocks: 2
; VGPRBlocks: 33
; NumSGPRsForWavesPerEU: 24
; NumVGPRsForWavesPerEU: 135
; Occupancy: 1
; WaveLimiterHint : 1
; COMPUTE_PGM_RSRC2:SCRATCH_EN: 0
; COMPUTE_PGM_RSRC2:USER_SGPR: 6
; COMPUTE_PGM_RSRC2:TRAP_HANDLER: 0
; COMPUTE_PGM_RSRC2:TGID_X_EN: 1
; COMPUTE_PGM_RSRC2:TGID_Y_EN: 0
; COMPUTE_PGM_RSRC2:TGID_Z_EN: 0
; COMPUTE_PGM_RSRC2:TIDIG_COMP_CNT: 0
	.type	__hip_cuid_24ea18c8524c074e,@object ; @__hip_cuid_24ea18c8524c074e
	.section	.bss,"aw",@nobits
	.globl	__hip_cuid_24ea18c8524c074e
__hip_cuid_24ea18c8524c074e:
	.byte	0                               ; 0x0
	.size	__hip_cuid_24ea18c8524c074e, 1

	.ident	"AMD clang version 19.0.0git (https://github.com/RadeonOpenCompute/llvm-project roc-6.4.0 25133 c7fe45cf4b819c5991fe208aaa96edf142730f1d)"
	.section	".note.GNU-stack","",@progbits
	.addrsig
	.addrsig_sym __hip_cuid_24ea18c8524c074e
	.amdgpu_metadata
---
amdhsa.kernels:
  - .args:
      - .actual_access:  read_only
        .address_space:  global
        .offset:         0
        .size:           8
        .value_kind:     global_buffer
      - .actual_access:  read_only
        .address_space:  global
        .offset:         8
        .size:           8
        .value_kind:     global_buffer
      - .actual_access:  read_only
        .address_space:  global
        .offset:         16
        .size:           8
        .value_kind:     global_buffer
      - .actual_access:  read_only
        .address_space:  global
        .offset:         24
        .size:           8
        .value_kind:     global_buffer
      - .actual_access:  read_only
        .address_space:  global
        .offset:         32
        .size:           8
        .value_kind:     global_buffer
      - .offset:         40
        .size:           8
        .value_kind:     by_value
      - .address_space:  global
        .offset:         48
        .size:           8
        .value_kind:     global_buffer
      - .address_space:  global
        .offset:         56
        .size:           8
        .value_kind:     global_buffer
      - .address_space:  global
        .offset:         64
        .size:           8
        .value_kind:     global_buffer
      - .address_space:  global
        .offset:         72
        .size:           8
        .value_kind:     global_buffer
      - .offset:         80
        .size:           4
        .value_kind:     by_value
      - .address_space:  global
        .offset:         88
        .size:           8
        .value_kind:     global_buffer
      - .address_space:  global
        .offset:         96
        .size:           8
        .value_kind:     global_buffer
    .group_segment_fixed_size: 14040
    .kernarg_segment_align: 8
    .kernarg_segment_size: 104
    .language:       OpenCL C
    .language_version:
      - 2
      - 0
    .max_flat_workgroup_size: 195
    .name:           bluestein_single_fwd_len585_dim1_sp_op_CI_CI
    .private_segment_fixed_size: 0
    .sgpr_count:     24
    .sgpr_spill_count: 0
    .symbol:         bluestein_single_fwd_len585_dim1_sp_op_CI_CI.kd
    .uniform_work_group_size: 1
    .uses_dynamic_stack: false
    .vgpr_count:     135
    .vgpr_spill_count: 0
    .wavefront_size: 64
amdhsa.target:   amdgcn-amd-amdhsa--gfx906
amdhsa.version:
  - 1
  - 2
...

	.end_amdgpu_metadata
